;; amdgpu-corpus repo=ROCm/rocFFT kind=compiled arch=gfx1201 opt=O3
	.text
	.amdgcn_target "amdgcn-amd-amdhsa--gfx1201"
	.amdhsa_code_object_version 6
	.protected	fft_rtc_fwd_len1680_factors_2_2_2_2_3_7_5_wgs_112_tpt_112_halfLds_dp_op_CI_CI_unitstride_sbrr_dirReg ; -- Begin function fft_rtc_fwd_len1680_factors_2_2_2_2_3_7_5_wgs_112_tpt_112_halfLds_dp_op_CI_CI_unitstride_sbrr_dirReg
	.globl	fft_rtc_fwd_len1680_factors_2_2_2_2_3_7_5_wgs_112_tpt_112_halfLds_dp_op_CI_CI_unitstride_sbrr_dirReg
	.p2align	8
	.type	fft_rtc_fwd_len1680_factors_2_2_2_2_3_7_5_wgs_112_tpt_112_halfLds_dp_op_CI_CI_unitstride_sbrr_dirReg,@function
fft_rtc_fwd_len1680_factors_2_2_2_2_3_7_5_wgs_112_tpt_112_halfLds_dp_op_CI_CI_unitstride_sbrr_dirReg: ; @fft_rtc_fwd_len1680_factors_2_2_2_2_3_7_5_wgs_112_tpt_112_halfLds_dp_op_CI_CI_unitstride_sbrr_dirReg
; %bb.0:
	s_clause 0x2
	s_load_b128 s[8:11], s[0:1], 0x0
	s_load_b128 s[4:7], s[0:1], 0x58
	;; [unrolled: 1-line block ×3, first 2 shown]
	v_mul_u32_u24_e32 v1, 0x24a, v0
	v_mov_b32_e32 v4, 0
	v_mov_b32_e32 v5, 0
	s_delay_alu instid0(VALU_DEP_3) | instskip(NEXT) | instid1(VALU_DEP_1)
	v_lshrrev_b32_e32 v2, 16, v1
	v_dual_mov_b32 v1, 0 :: v_dual_add_nc_u32 v6, ttmp9, v2
	s_delay_alu instid0(VALU_DEP_1) | instskip(SKIP_2) | instid1(VALU_DEP_1)
	v_mov_b32_e32 v7, v1
	s_wait_kmcnt 0x0
	v_cmp_lt_u64_e64 s2, s[10:11], 2
	s_and_b32 vcc_lo, exec_lo, s2
	s_cbranch_vccnz .LBB0_8
; %bb.1:
	s_load_b64 s[2:3], s[0:1], 0x10
	v_mov_b32_e32 v4, 0
	v_mov_b32_e32 v5, 0
	s_add_nc_u64 s[16:17], s[14:15], 8
	s_add_nc_u64 s[18:19], s[12:13], 8
	s_mov_b64 s[20:21], 1
	s_delay_alu instid0(VALU_DEP_1)
	v_dual_mov_b32 v97, v5 :: v_dual_mov_b32 v96, v4
	s_wait_kmcnt 0x0
	s_add_nc_u64 s[22:23], s[2:3], 8
	s_mov_b32 s3, 0
.LBB0_2:                                ; =>This Inner Loop Header: Depth=1
	s_load_b64 s[24:25], s[22:23], 0x0
                                        ; implicit-def: $vgpr98_vgpr99
	s_mov_b32 s2, exec_lo
	s_wait_kmcnt 0x0
	v_or_b32_e32 v2, s25, v7
	s_delay_alu instid0(VALU_DEP_1)
	v_cmpx_ne_u64_e32 0, v[1:2]
	s_wait_alu 0xfffe
	s_xor_b32 s26, exec_lo, s2
	s_cbranch_execz .LBB0_4
; %bb.3:                                ;   in Loop: Header=BB0_2 Depth=1
	s_cvt_f32_u32 s2, s24
	s_cvt_f32_u32 s27, s25
	s_sub_nc_u64 s[30:31], 0, s[24:25]
	s_wait_alu 0xfffe
	s_delay_alu instid0(SALU_CYCLE_1) | instskip(SKIP_1) | instid1(SALU_CYCLE_2)
	s_fmamk_f32 s2, s27, 0x4f800000, s2
	s_wait_alu 0xfffe
	v_s_rcp_f32 s2, s2
	s_delay_alu instid0(TRANS32_DEP_1) | instskip(SKIP_1) | instid1(SALU_CYCLE_2)
	s_mul_f32 s2, s2, 0x5f7ffffc
	s_wait_alu 0xfffe
	s_mul_f32 s27, s2, 0x2f800000
	s_wait_alu 0xfffe
	s_delay_alu instid0(SALU_CYCLE_2) | instskip(SKIP_1) | instid1(SALU_CYCLE_2)
	s_trunc_f32 s27, s27
	s_wait_alu 0xfffe
	s_fmamk_f32 s2, s27, 0xcf800000, s2
	s_cvt_u32_f32 s29, s27
	s_wait_alu 0xfffe
	s_delay_alu instid0(SALU_CYCLE_1) | instskip(SKIP_1) | instid1(SALU_CYCLE_2)
	s_cvt_u32_f32 s28, s2
	s_wait_alu 0xfffe
	s_mul_u64 s[34:35], s[30:31], s[28:29]
	s_wait_alu 0xfffe
	s_mul_hi_u32 s37, s28, s35
	s_mul_i32 s36, s28, s35
	s_mul_hi_u32 s2, s28, s34
	s_mul_i32 s33, s29, s34
	s_wait_alu 0xfffe
	s_add_nc_u64 s[36:37], s[2:3], s[36:37]
	s_mul_hi_u32 s27, s29, s34
	s_mul_hi_u32 s38, s29, s35
	s_add_co_u32 s2, s36, s33
	s_wait_alu 0xfffe
	s_add_co_ci_u32 s2, s37, s27
	s_mul_i32 s34, s29, s35
	s_add_co_ci_u32 s35, s38, 0
	s_wait_alu 0xfffe
	s_add_nc_u64 s[34:35], s[2:3], s[34:35]
	s_wait_alu 0xfffe
	v_add_co_u32 v2, s2, s28, s34
	s_delay_alu instid0(VALU_DEP_1) | instskip(SKIP_1) | instid1(VALU_DEP_1)
	s_cmp_lg_u32 s2, 0
	s_add_co_ci_u32 s29, s29, s35
	v_readfirstlane_b32 s28, v2
	s_wait_alu 0xfffe
	s_delay_alu instid0(VALU_DEP_1)
	s_mul_u64 s[30:31], s[30:31], s[28:29]
	s_wait_alu 0xfffe
	s_mul_hi_u32 s35, s28, s31
	s_mul_i32 s34, s28, s31
	s_mul_hi_u32 s2, s28, s30
	s_mul_i32 s33, s29, s30
	s_wait_alu 0xfffe
	s_add_nc_u64 s[34:35], s[2:3], s[34:35]
	s_mul_hi_u32 s27, s29, s30
	s_mul_hi_u32 s28, s29, s31
	s_wait_alu 0xfffe
	s_add_co_u32 s2, s34, s33
	s_add_co_ci_u32 s2, s35, s27
	s_mul_i32 s30, s29, s31
	s_add_co_ci_u32 s31, s28, 0
	s_wait_alu 0xfffe
	s_add_nc_u64 s[30:31], s[2:3], s[30:31]
	s_wait_alu 0xfffe
	v_add_co_u32 v8, s2, v2, s30
	s_delay_alu instid0(VALU_DEP_1) | instskip(SKIP_1) | instid1(VALU_DEP_1)
	s_cmp_lg_u32 s2, 0
	s_add_co_ci_u32 s2, s29, s31
	v_mul_hi_u32 v12, v6, v8
	s_wait_alu 0xfffe
	v_mad_co_u64_u32 v[2:3], null, v6, s2, 0
	v_mad_co_u64_u32 v[8:9], null, v7, v8, 0
	;; [unrolled: 1-line block ×3, first 2 shown]
	s_delay_alu instid0(VALU_DEP_3) | instskip(SKIP_1) | instid1(VALU_DEP_4)
	v_add_co_u32 v2, vcc_lo, v12, v2
	s_wait_alu 0xfffd
	v_add_co_ci_u32_e32 v3, vcc_lo, 0, v3, vcc_lo
	s_delay_alu instid0(VALU_DEP_2) | instskip(SKIP_1) | instid1(VALU_DEP_2)
	v_add_co_u32 v2, vcc_lo, v2, v8
	s_wait_alu 0xfffd
	v_add_co_ci_u32_e32 v2, vcc_lo, v3, v9, vcc_lo
	s_wait_alu 0xfffd
	v_add_co_ci_u32_e32 v3, vcc_lo, 0, v11, vcc_lo
	s_delay_alu instid0(VALU_DEP_2) | instskip(SKIP_1) | instid1(VALU_DEP_2)
	v_add_co_u32 v8, vcc_lo, v2, v10
	s_wait_alu 0xfffd
	v_add_co_ci_u32_e32 v9, vcc_lo, 0, v3, vcc_lo
	s_delay_alu instid0(VALU_DEP_2) | instskip(SKIP_1) | instid1(VALU_DEP_3)
	v_mul_lo_u32 v10, s25, v8
	v_mad_co_u64_u32 v[2:3], null, s24, v8, 0
	v_mul_lo_u32 v11, s24, v9
	s_delay_alu instid0(VALU_DEP_2) | instskip(NEXT) | instid1(VALU_DEP_2)
	v_sub_co_u32 v2, vcc_lo, v6, v2
	v_add3_u32 v3, v3, v11, v10
	s_delay_alu instid0(VALU_DEP_1) | instskip(SKIP_1) | instid1(VALU_DEP_1)
	v_sub_nc_u32_e32 v10, v7, v3
	s_wait_alu 0xfffd
	v_subrev_co_ci_u32_e64 v10, s2, s25, v10, vcc_lo
	v_add_co_u32 v11, s2, v8, 2
	s_wait_alu 0xf1ff
	v_add_co_ci_u32_e64 v12, s2, 0, v9, s2
	v_sub_co_u32 v13, s2, v2, s24
	v_sub_co_ci_u32_e32 v3, vcc_lo, v7, v3, vcc_lo
	s_wait_alu 0xf1ff
	v_subrev_co_ci_u32_e64 v10, s2, 0, v10, s2
	s_delay_alu instid0(VALU_DEP_3) | instskip(NEXT) | instid1(VALU_DEP_3)
	v_cmp_le_u32_e32 vcc_lo, s24, v13
	v_cmp_eq_u32_e64 s2, s25, v3
	s_wait_alu 0xfffd
	v_cndmask_b32_e64 v13, 0, -1, vcc_lo
	v_cmp_le_u32_e32 vcc_lo, s25, v10
	s_wait_alu 0xfffd
	v_cndmask_b32_e64 v14, 0, -1, vcc_lo
	v_cmp_le_u32_e32 vcc_lo, s24, v2
	;; [unrolled: 3-line block ×3, first 2 shown]
	s_wait_alu 0xfffd
	v_cndmask_b32_e64 v15, 0, -1, vcc_lo
	v_cmp_eq_u32_e32 vcc_lo, s25, v10
	s_wait_alu 0xf1ff
	s_delay_alu instid0(VALU_DEP_2)
	v_cndmask_b32_e64 v2, v15, v2, s2
	s_wait_alu 0xfffd
	v_cndmask_b32_e32 v10, v14, v13, vcc_lo
	v_add_co_u32 v13, vcc_lo, v8, 1
	s_wait_alu 0xfffd
	v_add_co_ci_u32_e32 v14, vcc_lo, 0, v9, vcc_lo
	s_delay_alu instid0(VALU_DEP_3) | instskip(SKIP_1) | instid1(VALU_DEP_2)
	v_cmp_ne_u32_e32 vcc_lo, 0, v10
	s_wait_alu 0xfffd
	v_dual_cndmask_b32 v3, v14, v12 :: v_dual_cndmask_b32 v10, v13, v11
	v_cmp_ne_u32_e32 vcc_lo, 0, v2
	s_wait_alu 0xfffd
	s_delay_alu instid0(VALU_DEP_2)
	v_dual_cndmask_b32 v99, v9, v3 :: v_dual_cndmask_b32 v98, v8, v10
.LBB0_4:                                ;   in Loop: Header=BB0_2 Depth=1
	s_wait_alu 0xfffe
	s_and_not1_saveexec_b32 s2, s26
	s_cbranch_execz .LBB0_6
; %bb.5:                                ;   in Loop: Header=BB0_2 Depth=1
	v_cvt_f32_u32_e32 v2, s24
	s_sub_co_i32 s26, 0, s24
	v_mov_b32_e32 v99, v1
	s_delay_alu instid0(VALU_DEP_2) | instskip(NEXT) | instid1(TRANS32_DEP_1)
	v_rcp_iflag_f32_e32 v2, v2
	v_mul_f32_e32 v2, 0x4f7ffffe, v2
	s_delay_alu instid0(VALU_DEP_1) | instskip(SKIP_1) | instid1(VALU_DEP_1)
	v_cvt_u32_f32_e32 v2, v2
	s_wait_alu 0xfffe
	v_mul_lo_u32 v3, s26, v2
	s_delay_alu instid0(VALU_DEP_1) | instskip(NEXT) | instid1(VALU_DEP_1)
	v_mul_hi_u32 v3, v2, v3
	v_add_nc_u32_e32 v2, v2, v3
	s_delay_alu instid0(VALU_DEP_1) | instskip(NEXT) | instid1(VALU_DEP_1)
	v_mul_hi_u32 v2, v6, v2
	v_mul_lo_u32 v3, v2, s24
	v_add_nc_u32_e32 v8, 1, v2
	s_delay_alu instid0(VALU_DEP_2) | instskip(NEXT) | instid1(VALU_DEP_1)
	v_sub_nc_u32_e32 v3, v6, v3
	v_subrev_nc_u32_e32 v9, s24, v3
	v_cmp_le_u32_e32 vcc_lo, s24, v3
	s_wait_alu 0xfffd
	s_delay_alu instid0(VALU_DEP_2) | instskip(NEXT) | instid1(VALU_DEP_1)
	v_dual_cndmask_b32 v3, v3, v9 :: v_dual_cndmask_b32 v2, v2, v8
	v_cmp_le_u32_e32 vcc_lo, s24, v3
	s_delay_alu instid0(VALU_DEP_2) | instskip(SKIP_1) | instid1(VALU_DEP_1)
	v_add_nc_u32_e32 v8, 1, v2
	s_wait_alu 0xfffd
	v_cndmask_b32_e32 v98, v2, v8, vcc_lo
.LBB0_6:                                ;   in Loop: Header=BB0_2 Depth=1
	s_wait_alu 0xfffe
	s_or_b32 exec_lo, exec_lo, s2
	v_mul_lo_u32 v8, v99, s24
	s_delay_alu instid0(VALU_DEP_2)
	v_mul_lo_u32 v9, v98, s25
	s_load_b64 s[26:27], s[18:19], 0x0
	v_mad_co_u64_u32 v[2:3], null, v98, s24, 0
	s_load_b64 s[24:25], s[16:17], 0x0
	s_add_nc_u64 s[20:21], s[20:21], 1
	s_add_nc_u64 s[16:17], s[16:17], 8
	s_wait_alu 0xfffe
	v_cmp_ge_u64_e64 s2, s[20:21], s[10:11]
	s_add_nc_u64 s[18:19], s[18:19], 8
	s_add_nc_u64 s[22:23], s[22:23], 8
	v_add3_u32 v3, v3, v9, v8
	v_sub_co_u32 v2, vcc_lo, v6, v2
	s_wait_alu 0xfffd
	s_delay_alu instid0(VALU_DEP_2) | instskip(SKIP_2) | instid1(VALU_DEP_1)
	v_sub_co_ci_u32_e32 v3, vcc_lo, v7, v3, vcc_lo
	s_and_b32 vcc_lo, exec_lo, s2
	s_wait_kmcnt 0x0
	v_mul_lo_u32 v6, s26, v3
	v_mul_lo_u32 v7, s27, v2
	v_mad_co_u64_u32 v[4:5], null, s26, v2, v[4:5]
	v_mul_lo_u32 v3, s24, v3
	v_mul_lo_u32 v8, s25, v2
	v_mad_co_u64_u32 v[96:97], null, s24, v2, v[96:97]
	s_delay_alu instid0(VALU_DEP_4) | instskip(NEXT) | instid1(VALU_DEP_2)
	v_add3_u32 v5, v7, v5, v6
	v_add3_u32 v97, v8, v97, v3
	s_wait_alu 0xfffe
	s_cbranch_vccnz .LBB0_9
; %bb.7:                                ;   in Loop: Header=BB0_2 Depth=1
	v_dual_mov_b32 v6, v98 :: v_dual_mov_b32 v7, v99
	s_branch .LBB0_2
.LBB0_8:
	v_dual_mov_b32 v97, v5 :: v_dual_mov_b32 v96, v4
	v_dual_mov_b32 v99, v7 :: v_dual_mov_b32 v98, v6
.LBB0_9:
	s_load_b64 s[0:1], s[0:1], 0x28
	v_mul_hi_u32 v1, 0x2492493, v0
	s_lshl_b64 s[10:11], s[10:11], 3
                                        ; implicit-def: $vgpr102
	s_wait_alu 0xfffe
	s_add_nc_u64 s[2:3], s[14:15], s[10:11]
	s_wait_kmcnt 0x0
	v_cmp_gt_u64_e32 vcc_lo, s[0:1], v[98:99]
	v_cmp_le_u64_e64 s0, s[0:1], v[98:99]
	s_delay_alu instid0(VALU_DEP_1)
	s_and_saveexec_b32 s1, s0
	s_wait_alu 0xfffe
	s_xor_b32 s0, exec_lo, s1
; %bb.10:
	v_mul_u32_u24_e32 v1, 0x70, v1
                                        ; implicit-def: $vgpr4_vgpr5
	s_delay_alu instid0(VALU_DEP_1)
	v_sub_nc_u32_e32 v102, v0, v1
                                        ; implicit-def: $vgpr1
                                        ; implicit-def: $vgpr0
; %bb.11:
	s_wait_alu 0xfffe
	s_or_saveexec_b32 s1, s0
	s_load_b64 s[2:3], s[2:3], 0x0
                                        ; implicit-def: $vgpr62_vgpr63
                                        ; implicit-def: $vgpr46_vgpr47
                                        ; implicit-def: $vgpr54_vgpr55
                                        ; implicit-def: $vgpr30_vgpr31
                                        ; implicit-def: $vgpr58_vgpr59
                                        ; implicit-def: $vgpr26_vgpr27
                                        ; implicit-def: $vgpr50_vgpr51
                                        ; implicit-def: $vgpr22_vgpr23
                                        ; implicit-def: $vgpr42_vgpr43
                                        ; implicit-def: $vgpr14_vgpr15
                                        ; implicit-def: $vgpr38_vgpr39
                                        ; implicit-def: $vgpr10_vgpr11
                                        ; implicit-def: $vgpr34_vgpr35
                                        ; implicit-def: $vgpr6_vgpr7
                                        ; implicit-def: $vgpr66_vgpr67
                                        ; implicit-def: $vgpr2_vgpr3
	s_xor_b32 exec_lo, exec_lo, s1
	s_cbranch_execz .LBB0_15
; %bb.12:
	s_add_nc_u64 s[10:11], s[12:13], s[10:11]
                                        ; implicit-def: $vgpr44_vgpr45
                                        ; implicit-def: $vgpr60_vgpr61
	s_load_b64 s[10:11], s[10:11], 0x0
	s_wait_kmcnt 0x0
	v_mul_lo_u32 v6, s11, v98
	v_mul_lo_u32 v7, s10, v99
	v_mad_co_u64_u32 v[2:3], null, s10, v98, 0
	s_delay_alu instid0(VALU_DEP_1) | instskip(SKIP_1) | instid1(VALU_DEP_2)
	v_add3_u32 v3, v3, v7, v6
	v_mul_u32_u24_e32 v6, 0x70, v1
	v_lshlrev_b64_e32 v[1:2], 4, v[2:3]
	v_lshlrev_b64_e32 v[3:4], 4, v[4:5]
	s_delay_alu instid0(VALU_DEP_3) | instskip(NEXT) | instid1(VALU_DEP_3)
	v_sub_nc_u32_e32 v102, v0, v6
	v_add_co_u32 v0, s0, s4, v1
	s_wait_alu 0xf1ff
	s_delay_alu instid0(VALU_DEP_4) | instskip(NEXT) | instid1(VALU_DEP_3)
	v_add_co_ci_u32_e64 v1, s0, s5, v2, s0
	v_lshlrev_b32_e32 v2, 4, v102
	s_delay_alu instid0(VALU_DEP_3) | instskip(SKIP_1) | instid1(VALU_DEP_3)
	v_add_co_u32 v0, s0, v0, v3
	s_wait_alu 0xf1ff
	v_add_co_ci_u32_e64 v1, s0, v1, v4, s0
	s_mov_b32 s4, exec_lo
	s_delay_alu instid0(VALU_DEP_2) | instskip(SKIP_1) | instid1(VALU_DEP_2)
	v_add_co_u32 v16, s0, v0, v2
	s_wait_alu 0xf1ff
	v_add_co_ci_u32_e64 v17, s0, 0, v1, s0
	s_clause 0xd
	global_load_b128 v[0:3], v[16:17], off
	global_load_b128 v[4:7], v[16:17], off offset:1792
	global_load_b128 v[32:35], v[16:17], off offset:15232
	;; [unrolled: 1-line block ×13, first 2 shown]
	v_cmpx_gt_u32_e32 56, v102
; %bb.13:
	s_clause 0x1
	global_load_b128 v[44:47], v[16:17], off offset:12544
	global_load_b128 v[60:63], v[16:17], off offset:25984
; %bb.14:
	s_wait_alu 0xfffe
	s_or_b32 exec_lo, exec_lo, s4
.LBB0_15:
	s_delay_alu instid0(SALU_CYCLE_1)
	s_or_b32 exec_lo, exec_lo, s1
	s_wait_loadcnt 0x3
	v_add_f64_e64 v[70:71], v[0:1], -v[64:65]
	s_wait_loadcnt 0x0
	v_add_f64_e64 v[18:19], v[44:45], -v[60:61]
	v_add_f64_e64 v[74:75], v[4:5], -v[32:33]
	;; [unrolled: 1-line block ×7, first 2 shown]
	v_add_nc_u32_e32 v104, 0x70, v102
	v_add_nc_u32_e32 v105, 0xe0, v102
	;; [unrolled: 1-line block ×4, first 2 shown]
	v_cmp_gt_u32_e64 s0, 56, v102
	v_fma_f64 v[68:69], v[0:1], 2.0, -v[70:71]
	v_fma_f64 v[16:17], v[44:45], 2.0, -v[18:19]
	;; [unrolled: 1-line block ×8, first 2 shown]
	v_add_nc_u32_e32 v0, 0x230, v102
	v_add_nc_u32_e32 v1, 0x2a0, v102
	;; [unrolled: 1-line block ×3, first 2 shown]
	v_lshl_add_u32 v12, v102, 4, 0
	v_lshl_add_u32 v28, v104, 4, 0
	;; [unrolled: 1-line block ×8, first 2 shown]
	ds_store_b128 v12, v[68:71]
	ds_store_b128 v28, v[72:75]
	;; [unrolled: 1-line block ×7, first 2 shown]
	s_and_saveexec_b32 s1, s0
	s_cbranch_execz .LBB0_17
; %bb.16:
	ds_store_b128 v9, v[16:19]
.LBB0_17:
	s_wait_alu 0xfffe
	s_or_b32 exec_lo, exec_lo, s1
	v_lshl_add_u32 v103, v102, 3, 0
	global_wb scope:SCOPE_SE
	s_wait_dscnt 0x0
	s_wait_kmcnt 0x0
	s_barrier_signal -1
	s_barrier_wait -1
	global_inv scope:SCOPE_SE
	v_add_nc_u32_e32 v4, 0x1400, v103
	v_add_nc_u32_e32 v5, 0x1c00, v103
	v_add_nc_u32_e32 v29, 0x400, v103
	v_add_nc_u32_e32 v32, 0x2400, v103
	v_add_nc_u32_e32 v33, 0x2800, v103
	ds_load_2addr_b64 v[76:79], v4 offset0:32 offset1:200
	v_add_nc_u32_e32 v4, 0xc00, v103
	ds_load_2addr_b64 v[84:87], v103 offset1:112
	ds_load_2addr_b64 v[80:83], v5 offset0:56 offset1:168
	ds_load_2addr_b64 v[88:91], v29 offset0:96 offset1:208
	;; [unrolled: 1-line block ×5, first 2 shown]
	s_and_saveexec_b32 s1, s0
	s_cbranch_execz .LBB0_19
; %bb.18:
	ds_load_b64 v[16:17], v103 offset:6272
	ds_load_b64 v[18:19], v103 offset:12992
.LBB0_19:
	s_wait_alu 0xfffe
	s_or_b32 exec_lo, exec_lo, s1
	v_add_f64_e64 v[36:37], v[2:3], -v[66:67]
	v_add_f64_e64 v[4:5], v[46:47], -v[62:63]
	;; [unrolled: 1-line block ×8, first 2 shown]
	global_wb scope:SCOPE_SE
	s_wait_dscnt 0x0
	s_barrier_signal -1
	s_barrier_wait -1
	global_inv scope:SCOPE_SE
	v_fma_f64 v[34:35], v[2:3], 2.0, -v[36:37]
	v_fma_f64 v[2:3], v[46:47], 2.0, -v[4:5]
	;; [unrolled: 1-line block ×8, first 2 shown]
	ds_store_b128 v12, v[34:37]
	ds_store_b128 v28, v[38:41]
	;; [unrolled: 1-line block ×7, first 2 shown]
	s_and_saveexec_b32 s1, s0
	s_cbranch_execz .LBB0_21
; %bb.20:
	ds_store_b128 v9, v[2:5]
.LBB0_21:
	s_wait_alu 0xfffe
	s_or_b32 exec_lo, exec_lo, s1
	v_add_nc_u32_e32 v6, 0x1400, v103
	global_wb scope:SCOPE_SE
	s_wait_dscnt 0x0
	s_barrier_signal -1
	s_barrier_wait -1
	global_inv scope:SCOPE_SE
	ds_load_2addr_b64 v[28:31], v103 offset1:112
	ds_load_2addr_b64 v[24:27], v6 offset0:32 offset1:200
	v_add_nc_u32_e32 v6, 0x1c00, v103
	v_add_nc_u32_e32 v7, 0x400, v103
	;; [unrolled: 1-line block ×5, first 2 shown]
	ds_load_2addr_b64 v[40:43], v6 offset0:56 offset1:168
	ds_load_2addr_b64 v[32:35], v7 offset0:96 offset1:208
	;; [unrolled: 1-line block ×5, first 2 shown]
	v_lshlrev_b32_e32 v114, 1, v102
	v_lshlrev_b32_e32 v113, 1, v104
	;; [unrolled: 1-line block ×7, first 2 shown]
	s_and_saveexec_b32 s1, s0
	s_cbranch_execz .LBB0_23
; %bb.22:
	ds_load_b64 v[2:3], v103 offset:6272
	ds_load_b64 v[4:5], v103 offset:12992
.LBB0_23:
	s_wait_alu 0xfffe
	s_or_b32 exec_lo, exec_lo, s1
	v_and_b32_e32 v60, 1, v102
	s_delay_alu instid0(VALU_DEP_1)
	v_lshlrev_b32_e32 v0, 4, v60
	v_and_or_b32 v15, 0x1fc, v113, v60
	v_and_or_b32 v65, 0x7fc, v110, v60
	;; [unrolled: 1-line block ×4, first 2 shown]
	global_load_b128 v[56:59], v0, s[8:9]
	v_lshl_add_u32 v62, v15, 3, 0
	v_lshl_add_u32 v65, v65, 3, 0
	;; [unrolled: 1-line block ×4, first 2 shown]
	global_wb scope:SCOPE_SE
	s_wait_loadcnt_dscnt 0x0
	s_barrier_signal -1
	s_barrier_wait -1
	global_inv scope:SCOPE_SE
	v_mul_f64_e32 v[0:1], v[26:27], v[58:59]
	v_mul_f64_e32 v[52:53], v[4:5], v[58:59]
	;; [unrolled: 1-line block ×8, first 2 shown]
	v_fma_f64 v[0:1], v[78:79], v[56:57], -v[0:1]
	v_fma_f64 v[52:53], v[18:19], v[56:57], -v[52:53]
	;; [unrolled: 1-line block ×8, first 2 shown]
	v_add_f64_e64 v[54:55], v[84:85], -v[0:1]
	v_add_f64_e64 v[100:101], v[16:17], -v[52:53]
	;; [unrolled: 1-line block ×8, first 2 shown]
	v_fma_f64 v[52:53], v[84:85], 2.0, -v[54:55]
	v_fma_f64 v[0:1], v[16:17], 2.0, -v[100:101]
	;; [unrolled: 1-line block ×8, first 2 shown]
	v_lshlrev_b32_e32 v92, 1, v8
	v_and_or_b32 v8, 0xfc, v114, v60
	v_and_or_b32 v16, 0x3fc, v112, v60
	;; [unrolled: 1-line block ×3, first 2 shown]
	s_delay_alu instid0(VALU_DEP_3) | instskip(NEXT) | instid1(VALU_DEP_3)
	v_lshl_add_u32 v61, v8, 3, 0
	v_lshl_add_u32 v63, v16, 3, 0
	s_delay_alu instid0(VALU_DEP_3)
	v_lshl_add_u32 v64, v17, 3, 0
	ds_store_2addr_b64 v61, v[52:53], v[54:55] offset1:2
	ds_store_2addr_b64 v62, v[84:85], v[6:7] offset1:2
	;; [unrolled: 1-line block ×7, first 2 shown]
	s_and_saveexec_b32 s1, s0
	s_cbranch_execz .LBB0_25
; %bb.24:
	v_and_or_b32 v6, 0x6fc, v92, v60
	s_delay_alu instid0(VALU_DEP_1)
	v_lshl_add_u32 v6, v6, 3, 0
	ds_store_2addr_b64 v6, v[0:1], v[100:101] offset1:2
.LBB0_25:
	s_wait_alu 0xfffe
	s_or_b32 exec_lo, exec_lo, s1
	v_add_nc_u32_e32 v10, 0x1c00, v103
	v_add_nc_u32_e32 v6, 0x1400, v103
	;; [unrolled: 1-line block ×6, first 2 shown]
	global_wb scope:SCOPE_SE
	s_wait_dscnt 0x0
	s_barrier_signal -1
	s_barrier_wait -1
	global_inv scope:SCOPE_SE
	ds_load_2addr_b64 v[52:55], v103 offset1:112
	ds_load_2addr_b64 v[6:9], v6 offset0:32 offset1:200
	ds_load_2addr_b64 v[20:23], v10 offset0:56 offset1:168
	;; [unrolled: 1-line block ×6, first 2 shown]
	s_and_saveexec_b32 s1, s0
	s_cbranch_execz .LBB0_27
; %bb.26:
	ds_load_b64 v[0:1], v103 offset:6272
	ds_load_b64 v[100:101], v103 offset:12992
.LBB0_27:
	s_wait_alu 0xfffe
	s_or_b32 exec_lo, exec_lo, s1
	v_mul_f64_e32 v[76:77], v[78:79], v[58:59]
	v_mul_f64_e32 v[18:19], v[18:19], v[58:59]
	v_mul_f64_e32 v[78:79], v[80:81], v[58:59]
	v_mul_f64_e32 v[80:81], v[82:83], v[58:59]
	v_mul_f64_e32 v[72:73], v[72:73], v[58:59]
	v_mul_f64_e32 v[74:75], v[74:75], v[58:59]
	v_mul_f64_e32 v[68:69], v[68:69], v[58:59]
	v_mul_f64_e32 v[70:71], v[70:71], v[58:59]
	global_wb scope:SCOPE_SE
	s_wait_dscnt 0x0
	s_barrier_signal -1
	s_barrier_wait -1
	global_inv scope:SCOPE_SE
	v_fma_f64 v[26:27], v[26:27], v[56:57], v[76:77]
	v_fma_f64 v[4:5], v[4:5], v[56:57], v[18:19]
	;; [unrolled: 1-line block ×8, first 2 shown]
	v_add_f64_e64 v[26:27], v[28:29], -v[26:27]
	v_add_f64_e64 v[80:81], v[2:3], -v[4:5]
	v_add_f64_e64 v[40:41], v[30:31], -v[40:41]
	v_add_f64_e64 v[42:43], v[32:33], -v[42:43]
	v_add_f64_e64 v[44:45], v[34:35], -v[44:45]
	v_add_f64_e64 v[46:47], v[36:37], -v[46:47]
	v_add_f64_e64 v[48:49], v[38:39], -v[48:49]
	v_add_f64_e64 v[50:51], v[24:25], -v[50:51]
	v_fma_f64 v[4:5], v[28:29], 2.0, -v[26:27]
	v_fma_f64 v[18:19], v[2:3], 2.0, -v[80:81]
	;; [unrolled: 1-line block ×8, first 2 shown]
	ds_store_2addr_b64 v61, v[4:5], v[26:27] offset1:2
	ds_store_2addr_b64 v62, v[28:29], v[40:41] offset1:2
	;; [unrolled: 1-line block ×7, first 2 shown]
	s_and_saveexec_b32 s1, s0
	s_cbranch_execz .LBB0_29
; %bb.28:
	v_and_or_b32 v2, 0x6fc, v92, v60
	s_delay_alu instid0(VALU_DEP_1)
	v_lshl_add_u32 v2, v2, 3, 0
	ds_store_2addr_b64 v2, v[18:19], v[80:81] offset1:2
.LBB0_29:
	s_wait_alu 0xfffe
	s_or_b32 exec_lo, exec_lo, s1
	v_add_nc_u32_e32 v2, 0x1400, v103
	global_wb scope:SCOPE_SE
	s_wait_dscnt 0x0
	s_barrier_signal -1
	s_barrier_wait -1
	global_inv scope:SCOPE_SE
	ds_load_2addr_b64 v[40:43], v103 offset1:112
	ds_load_2addr_b64 v[36:39], v2 offset0:32 offset1:200
	v_add_nc_u32_e32 v2, 0x1c00, v103
	v_add_nc_u32_e32 v3, 0x400, v103
	;; [unrolled: 1-line block ×5, first 2 shown]
	ds_load_2addr_b64 v[56:59], v2 offset0:56 offset1:168
	ds_load_2addr_b64 v[44:47], v3 offset0:96 offset1:208
	;; [unrolled: 1-line block ×5, first 2 shown]
	s_and_saveexec_b32 s1, s0
	s_cbranch_execz .LBB0_31
; %bb.30:
	ds_load_b64 v[18:19], v103 offset:6272
	ds_load_b64 v[80:81], v103 offset:12992
.LBB0_31:
	s_wait_alu 0xfffe
	s_or_b32 exec_lo, exec_lo, s1
	v_and_b32_e32 v82, 3, v102
	s_delay_alu instid0(VALU_DEP_1)
	v_lshlrev_b32_e32 v2, 4, v82
	global_load_b128 v[72:75], v2, s[8:9] offset:32
	global_wb scope:SCOPE_SE
	s_wait_loadcnt_dscnt 0x0
	s_barrier_signal -1
	s_barrier_wait -1
	global_inv scope:SCOPE_SE
	v_mul_f64_e32 v[2:3], v[38:39], v[74:75]
	v_mul_f64_e32 v[34:35], v[80:81], v[74:75]
	;; [unrolled: 1-line block ×8, first 2 shown]
	v_fma_f64 v[2:3], v[8:9], v[72:73], -v[2:3]
	v_fma_f64 v[34:35], v[100:101], v[72:73], -v[34:35]
	;; [unrolled: 1-line block ×8, first 2 shown]
	v_add_f64_e64 v[2:3], v[52:53], -v[2:3]
	v_add_f64_e64 v[76:77], v[0:1], -v[34:35]
	;; [unrolled: 1-line block ×8, first 2 shown]
	v_fma_f64 v[34:35], v[52:53], 2.0, -v[2:3]
	v_fma_f64 v[78:79], v[0:1], 2.0, -v[76:77]
	;; [unrolled: 1-line block ×8, first 2 shown]
	v_and_or_b32 v0, 0xf8, v114, v82
	v_and_or_b32 v1, 0x1f8, v113, v82
	;; [unrolled: 1-line block ×7, first 2 shown]
	v_lshl_add_u32 v83, v0, 3, 0
	v_lshl_add_u32 v84, v1, 3, 0
	;; [unrolled: 1-line block ×7, first 2 shown]
	ds_store_2addr_b64 v83, v[34:35], v[2:3] offset1:4
	ds_store_2addr_b64 v84, v[52:53], v[4:5] offset1:4
	;; [unrolled: 1-line block ×7, first 2 shown]
	s_and_saveexec_b32 s1, s0
	s_cbranch_execz .LBB0_33
; %bb.32:
	v_and_or_b32 v0, 0x6f8, v92, v82
	s_delay_alu instid0(VALU_DEP_1)
	v_lshl_add_u32 v0, v0, 3, 0
	ds_store_2addr_b64 v0, v[78:79], v[76:77] offset1:4
.LBB0_33:
	s_wait_alu 0xfffe
	s_or_b32 exec_lo, exec_lo, s1
	v_add_nc_u32_e32 v24, 0x1c00, v103
	v_add_nc_u32_e32 v0, 0x1400, v103
	v_add_nc_u32_e32 v25, 0x400, v103
	v_add_nc_u32_e32 v26, 0x2400, v103
	v_add_nc_u32_e32 v27, 0xc00, v103
	v_add_nc_u32_e32 v90, 0x2800, v103
	global_wb scope:SCOPE_SE
	s_wait_dscnt 0x0
	s_barrier_signal -1
	s_barrier_wait -1
	global_inv scope:SCOPE_SE
	ds_load_2addr_b64 v[4:7], v103 offset1:112
	ds_load_2addr_b64 v[0:3], v0 offset0:32 offset1:200
	ds_load_2addr_b64 v[32:35], v24 offset0:56 offset1:168
	ds_load_2addr_b64 v[52:55], v25 offset0:96 offset1:208
	ds_load_2addr_b64 v[28:31], v26 offset0:24 offset1:136
	ds_load_2addr_b64 v[68:71], v27 offset0:64 offset1:176
	ds_load_2addr_b64 v[24:27], v90 offset0:120 offset1:232
	s_and_saveexec_b32 s1, s0
	s_cbranch_execz .LBB0_35
; %bb.34:
	ds_load_b64 v[78:79], v103 offset:6272
	ds_load_b64 v[76:77], v103 offset:12992
.LBB0_35:
	s_wait_alu 0xfffe
	s_or_b32 exec_lo, exec_lo, s1
	v_mul_f64_e32 v[8:9], v[8:9], v[74:75]
	v_mul_f64_e32 v[20:21], v[20:21], v[74:75]
	;; [unrolled: 1-line block ×8, first 2 shown]
	global_wb scope:SCOPE_SE
	s_wait_dscnt 0x0
	s_barrier_signal -1
	s_barrier_wait -1
	global_inv scope:SCOPE_SE
	v_fma_f64 v[8:9], v[38:39], v[72:73], v[8:9]
	v_fma_f64 v[20:21], v[56:57], v[72:73], v[20:21]
	v_fma_f64 v[22:23], v[58:59], v[72:73], v[22:23]
	v_fma_f64 v[14:15], v[60:61], v[72:73], v[14:15]
	v_fma_f64 v[16:17], v[62:63], v[72:73], v[16:17]
	v_fma_f64 v[10:11], v[64:65], v[72:73], v[10:11]
	v_fma_f64 v[12:13], v[66:67], v[72:73], v[12:13]
	v_fma_f64 v[38:39], v[80:81], v[72:73], v[74:75]
	v_add_f64_e64 v[8:9], v[40:41], -v[8:9]
	v_add_f64_e64 v[20:21], v[42:43], -v[20:21]
	;; [unrolled: 1-line block ×8, first 2 shown]
	v_fma_f64 v[38:39], v[40:41], 2.0, -v[8:9]
	v_fma_f64 v[40:41], v[42:43], 2.0, -v[20:21]
	;; [unrolled: 1-line block ×8, first 2 shown]
	ds_store_2addr_b64 v83, v[38:39], v[8:9] offset1:4
	ds_store_2addr_b64 v84, v[40:41], v[20:21] offset1:4
	;; [unrolled: 1-line block ×7, first 2 shown]
	s_and_saveexec_b32 s1, s0
	s_cbranch_execz .LBB0_37
; %bb.36:
	v_and_or_b32 v8, 0x6f8, v92, v82
	s_delay_alu instid0(VALU_DEP_1)
	v_lshl_add_u32 v8, v8, 3, 0
	ds_store_2addr_b64 v8, v[56:57], v[58:59] offset1:4
.LBB0_37:
	s_wait_alu 0xfffe
	s_or_b32 exec_lo, exec_lo, s1
	v_add_nc_u32_e32 v16, 0x1c00, v103
	v_add_nc_u32_e32 v8, 0x1400, v103
	;; [unrolled: 1-line block ×6, first 2 shown]
	global_wb scope:SCOPE_SE
	s_wait_dscnt 0x0
	s_barrier_signal -1
	s_barrier_wait -1
	global_inv scope:SCOPE_SE
	ds_load_2addr_b64 v[12:15], v103 offset1:112
	ds_load_2addr_b64 v[8:11], v8 offset0:32 offset1:200
	ds_load_2addr_b64 v[36:39], v16 offset0:56 offset1:168
	;; [unrolled: 1-line block ×6, first 2 shown]
	s_and_saveexec_b32 s1, s0
	s_cbranch_execz .LBB0_39
; %bb.38:
	ds_load_b64 v[56:57], v103 offset:6272
	ds_load_b64 v[58:59], v103 offset:12992
.LBB0_39:
	s_wait_alu 0xfffe
	s_or_b32 exec_lo, exec_lo, s1
	v_and_b32_e32 v60, 7, v102
	s_delay_alu instid0(VALU_DEP_1)
	v_lshlrev_b32_e32 v48, 4, v60
	global_load_b128 v[48:51], v48, s[8:9] offset:96
	global_wb scope:SCOPE_SE
	s_wait_loadcnt_dscnt 0x0
	s_barrier_signal -1
	s_barrier_wait -1
	global_inv scope:SCOPE_SE
	v_mul_f64_e32 v[61:62], v[10:11], v[50:51]
	v_mul_f64_e32 v[63:64], v[36:37], v[50:51]
	;; [unrolled: 1-line block ×8, first 2 shown]
	v_fma_f64 v[61:62], v[2:3], v[48:49], -v[61:62]
	v_fma_f64 v[63:64], v[32:33], v[48:49], -v[63:64]
	;; [unrolled: 1-line block ×7, first 2 shown]
	v_add_f64_e64 v[86:87], v[4:5], -v[61:62]
	v_add_f64_e64 v[62:63], v[6:7], -v[63:64]
	v_add_f64_e64 v[64:65], v[52:53], -v[65:66]
	v_add_f64_e64 v[66:67], v[54:55], -v[72:73]
	v_add_f64_e64 v[72:73], v[68:69], -v[74:75]
	v_add_f64_e64 v[74:75], v[70:71], -v[80:81]
	v_add_f64_e64 v[80:81], v[0:1], -v[82:83]
	v_fma_f64 v[82:83], v[76:77], v[48:49], -v[84:85]
	v_and_or_b32 v61, 0x7f0, v108, v60
	s_delay_alu instid0(VALU_DEP_1)
	v_lshl_add_u32 v61, v61, 3, 0
	v_fma_f64 v[4:5], v[4:5], 2.0, -v[86:87]
	v_fma_f64 v[84:85], v[6:7], 2.0, -v[62:63]
	;; [unrolled: 1-line block ×7, first 2 shown]
	v_add_f64_e64 v[6:7], v[78:79], -v[82:83]
	v_and_or_b32 v0, 0xf0, v114, v60
	v_and_or_b32 v1, 0x1f0, v113, v60
	;; [unrolled: 1-line block ×6, first 2 shown]
	v_lshl_add_u32 v0, v0, 3, 0
	v_lshl_add_u32 v1, v1, 3, 0
	;; [unrolled: 1-line block ×6, first 2 shown]
	ds_store_2addr_b64 v0, v[4:5], v[86:87] offset1:8
	ds_store_2addr_b64 v1, v[84:85], v[62:63] offset1:8
	;; [unrolled: 1-line block ×7, first 2 shown]
	s_and_saveexec_b32 s1, s0
	s_cbranch_execz .LBB0_41
; %bb.40:
	v_fma_f64 v[4:5], v[78:79], 2.0, -v[6:7]
	v_and_or_b32 v62, 0x6f0, v92, v60
	s_delay_alu instid0(VALU_DEP_1)
	v_lshl_add_u32 v62, v62, 3, 0
	ds_store_2addr_b64 v62, v[4:5], v[6:7] offset1:8
.LBB0_41:
	s_wait_alu 0xfffe
	s_or_b32 exec_lo, exec_lo, s1
	v_mul_f64_e32 v[2:3], v[2:3], v[50:51]
	v_mul_f64_e32 v[4:5], v[32:33], v[50:51]
	;; [unrolled: 1-line block ×7, first 2 shown]
	global_wb scope:SCOPE_SE
	s_wait_dscnt 0x0
	s_barrier_signal -1
	s_barrier_wait -1
	global_inv scope:SCOPE_SE
	v_fma_f64 v[2:3], v[10:11], v[48:49], v[2:3]
	v_fma_f64 v[4:5], v[36:37], v[48:49], v[4:5]
	;; [unrolled: 1-line block ×3, first 2 shown]
	v_mul_f64_e32 v[32:33], v[76:77], v[50:51]
	v_fma_f64 v[28:29], v[40:41], v[48:49], v[28:29]
	v_fma_f64 v[30:31], v[42:43], v[48:49], v[30:31]
	;; [unrolled: 1-line block ×4, first 2 shown]
	v_add_nc_u32_e32 v44, 0xc00, v103
	v_add_nc_u32_e32 v40, 0x2000, v103
	;; [unrolled: 1-line block ×6, first 2 shown]
	v_add_f64_e64 v[50:51], v[12:13], -v[2:3]
	v_add_f64_e64 v[62:63], v[14:15], -v[4:5]
	;; [unrolled: 1-line block ×3, first 2 shown]
	v_fma_f64 v[2:3], v[58:59], v[48:49], v[32:33]
	v_add_f64_e64 v[64:65], v[18:19], -v[28:29]
	v_add_f64_e64 v[66:67], v[20:21], -v[30:31]
	;; [unrolled: 1-line block ×4, first 2 shown]
	v_fma_f64 v[47:48], v[12:13], 2.0, -v[50:51]
	v_fma_f64 v[58:59], v[14:15], 2.0, -v[62:63]
	;; [unrolled: 1-line block ×3, first 2 shown]
	v_add_f64_e64 v[2:3], v[56:57], -v[2:3]
	v_fma_f64 v[74:75], v[18:19], 2.0, -v[64:65]
	v_fma_f64 v[76:77], v[20:21], 2.0, -v[66:67]
	;; [unrolled: 1-line block ×4, first 2 shown]
	ds_load_2addr_b64 v[12:15], v103 offset1:112
	ds_load_b64 v[4:5], v103 offset:12544
	ds_load_2addr_b64 v[16:19], v44 offset0:64 offset1:176
	ds_load_2addr_b64 v[36:39], v40 offset0:96 offset1:208
	;; [unrolled: 1-line block ×6, first 2 shown]
	global_wb scope:SCOPE_SE
	s_wait_dscnt 0x0
	s_barrier_signal -1
	s_barrier_wait -1
	global_inv scope:SCOPE_SE
	ds_store_2addr_b64 v0, v[47:48], v[50:51] offset1:8
	ds_store_2addr_b64 v1, v[58:59], v[62:63] offset1:8
	;; [unrolled: 1-line block ×7, first 2 shown]
	s_and_saveexec_b32 s1, s0
	s_cbranch_execz .LBB0_43
; %bb.42:
	v_fma_f64 v[0:1], v[56:57], 2.0, -v[2:3]
	v_and_or_b32 v8, 0x6f0, v92, v60
	s_delay_alu instid0(VALU_DEP_1)
	v_lshl_add_u32 v8, v8, 3, 0
	ds_store_2addr_b64 v8, v[0:1], v[2:3] offset1:8
.LBB0_43:
	s_wait_alu 0xfffe
	s_or_b32 exec_lo, exec_lo, s1
	v_and_b32_e32 v122, 15, v102
	global_wb scope:SCOPE_SE
	s_wait_dscnt 0x0
	s_barrier_signal -1
	s_barrier_wait -1
	global_inv scope:SCOPE_SE
	v_lshlrev_b32_e32 v0, 5, v122
	s_mov_b32 s4, 0xe8584caa
	s_mov_b32 s5, 0x3febb67a
	;; [unrolled: 1-line block ×3, first 2 shown]
	s_wait_alu 0xfffe
	s_mov_b32 s10, s4
	s_clause 0x1
	global_load_b128 v[52:55], v0, s[8:9] offset:224
	global_load_b128 v[56:59], v0, s[8:9] offset:240
	ds_load_2addr_b64 v[8:11], v44 offset0:64 offset1:176
	ds_load_2addr_b64 v[60:63], v40 offset0:96 offset1:208
	;; [unrolled: 1-line block ×5, first 2 shown]
	ds_load_b64 v[84:85], v103 offset:12544
	v_cmp_gt_u32_e64 s0, 16, v102
	s_wait_loadcnt_dscnt 0x105
	v_mul_f64_e32 v[0:1], v[10:11], v[54:55]
	s_wait_loadcnt_dscnt 0x4
	v_mul_f64_e32 v[40:41], v[60:61], v[58:59]
	s_wait_dscnt 0x3
	v_mul_f64_e32 v[42:43], v[80:81], v[54:55]
	v_mul_f64_e32 v[47:48], v[62:63], v[58:59]
	;; [unrolled: 1-line block ×3, first 2 shown]
	s_wait_dscnt 0x2
	v_mul_f64_e32 v[66:67], v[86:87], v[58:59]
	s_wait_dscnt 0x1
	v_mul_f64_e32 v[70:71], v[90:91], v[54:55]
	v_mul_f64_e32 v[72:73], v[88:89], v[58:59]
	;; [unrolled: 1-line block ×3, first 2 shown]
	s_wait_dscnt 0x0
	v_mul_f64_e32 v[94:95], v[84:85], v[58:59]
	v_mul_f64_e32 v[100:101], v[18:19], v[54:55]
	;; [unrolled: 1-line block ×11, first 2 shown]
	v_fma_f64 v[74:75], v[18:19], v[52:53], -v[0:1]
	v_fma_f64 v[76:77], v[36:37], v[56:57], -v[40:41]
	;; [unrolled: 1-line block ×10, first 2 shown]
	v_fma_f64 v[78:79], v[10:11], v[52:53], v[100:101]
	v_fma_f64 v[10:11], v[60:61], v[56:57], v[108:109]
	;; [unrolled: 1-line block ×10, first 2 shown]
	v_lshrrev_b32_e32 v47, 4, v107
	v_add_nc_u32_e32 v94, 0x1c00, v103
	ds_load_2addr_b64 v[32:35], v103 offset1:112
	v_add_nc_u32_e32 v95, 0x2400, v103
	v_add_nc_u32_e32 v100, 0x2c00, v103
	v_mul_u32_u24_e32 v47, 48, v47
                                        ; implicit-def: $vgpr84_vgpr85
	s_delay_alu instid0(VALU_DEP_1) | instskip(NEXT) | instid1(VALU_DEP_1)
	v_or_b32_e32 v47, v47, v122
	v_lshl_add_u32 v101, v47, 3, 0
	v_add_f64_e32 v[30:31], v[12:13], v[74:75]
	v_add_f64_e32 v[4:5], v[74:75], v[76:77]
	;; [unrolled: 1-line block ×10, first 2 shown]
	v_add_f64_e64 v[36:37], v[78:79], -v[10:11]
	v_fma_f64 v[4:5], v[4:5], -0.5, v[12:13]
	v_add_f64_e64 v[12:13], v[80:81], -v[66:67]
	v_fma_f64 v[14:15], v[18:19], -0.5, v[14:15]
	;; [unrolled: 2-line block ×5, first 2 shown]
	v_add_f64_e32 v[28:29], v[30:31], v[76:77]
	v_add_f64_e32 v[30:31], v[38:39], v[64:65]
	;; [unrolled: 1-line block ×5, first 2 shown]
	v_fma_f64 v[58:59], v[36:37], s[4:5], v[4:5]
	s_wait_alu 0xfffe
	v_fma_f64 v[60:61], v[36:37], s[10:11], v[4:5]
	v_fma_f64 v[62:63], v[12:13], s[4:5], v[14:15]
	;; [unrolled: 1-line block ×9, first 2 shown]
	v_lshrrev_b32_e32 v16, 4, v102
	v_lshrrev_b32_e32 v17, 4, v104
	;; [unrolled: 1-line block ×4, first 2 shown]
	ds_load_2addr_b64 v[36:39], v46 offset0:96 offset1:208
	v_mul_u32_u24_e32 v16, 48, v16
	v_mul_u32_u24_e32 v17, 48, v17
	v_mul_u32_u24_e32 v26, 48, v26
	v_mul_u32_u24_e32 v27, 48, v27
	global_wb scope:SCOPE_SE
	s_wait_dscnt 0x0
	v_or_b32_e32 v16, v16, v122
	v_or_b32_e32 v17, v17, v122
	;; [unrolled: 1-line block ×4, first 2 shown]
	s_barrier_signal -1
	v_lshl_add_u32 v109, v16, 3, 0
	v_lshl_add_u32 v108, v17, 3, 0
	;; [unrolled: 1-line block ×3, first 2 shown]
	s_barrier_wait -1
	global_inv scope:SCOPE_SE
	v_lshl_add_u32 v106, v27, 3, 0
	ds_store_2addr_b64 v109, v[28:29], v[58:59] offset1:16
	ds_store_b64 v109, v[60:61] offset:256
	ds_store_2addr_b64 v108, v[30:31], v[62:63] offset1:16
	ds_store_b64 v108, v[12:13] offset:256
	ds_store_2addr_b64 v107, v[52:53], v[14:15] offset1:16
	ds_store_b64 v107, v[18:19] offset:256
	ds_store_2addr_b64 v106, v[54:55], v[20:21] offset1:16
	ds_store_b64 v106, v[22:23] offset:256
	ds_store_2addr_b64 v101, v[56:57], v[24:25] offset1:16
	ds_store_b64 v101, v[4:5] offset:256
	global_wb scope:SCOPE_SE
	s_wait_dscnt 0x0
	s_barrier_signal -1
	s_barrier_wait -1
	global_inv scope:SCOPE_SE
	ds_load_2addr_b64 v[16:19], v103 offset1:112
	ds_load_2addr_b64 v[60:63], v46 offset0:112 offset1:224
	ds_load_2addr_b64 v[56:59], v44 offset0:96 offset1:208
	;; [unrolled: 1-line block ×6, first 2 shown]
                                        ; implicit-def: $vgpr14_vgpr15
                                        ; implicit-def: $vgpr30_vgpr31
	s_and_saveexec_b32 s1, s0
	s_cbranch_execz .LBB0_45
; %bb.44:
	v_add_nc_u32_e32 v4, 0x700, v103
	v_add_nc_u32_e32 v12, 0x1600, v103
	;; [unrolled: 1-line block ×3, first 2 shown]
	ds_load_2addr_b64 v[4:7], v4 offset1:240
	ds_load_2addr_b64 v[28:31], v12 offset1:240
	;; [unrolled: 1-line block ×3, first 2 shown]
	ds_load_b64 v[84:85], v103 offset:13312
.LBB0_45:
	s_wait_alu 0xfffe
	s_or_b32 exec_lo, exec_lo, s1
	v_add_f64_e32 v[110:111], v[78:79], v[10:11]
	v_add_f64_e32 v[112:113], v[80:81], v[66:67]
	;; [unrolled: 1-line block ×6, first 2 shown]
	v_add_f64_e64 v[74:75], v[74:75], -v[76:77]
	v_add_f64_e32 v[76:77], v[34:35], v[80:81]
	v_add_f64_e32 v[80:81], v[36:37], v[82:83]
	v_add_f64_e64 v[40:41], v[40:41], -v[64:65]
	v_add_f64_e64 v[42:43], v[42:43], -v[68:69]
	v_add_f64_e32 v[82:83], v[38:39], v[86:87]
	v_add_f64_e64 v[48:49], v[48:49], -v[70:71]
	v_add_f64_e32 v[86:87], v[8:9], v[92:93]
	v_add_f64_e64 v[0:1], v[0:1], -v[50:51]
	global_wb scope:SCOPE_SE
	s_wait_dscnt 0x0
	s_barrier_signal -1
	s_barrier_wait -1
	global_inv scope:SCOPE_SE
	v_fma_f64 v[32:33], v[110:111], -0.5, v[32:33]
	v_fma_f64 v[34:35], v[112:113], -0.5, v[34:35]
	;; [unrolled: 1-line block ×5, first 2 shown]
	v_add_f64_e32 v[10:11], v[78:79], v[10:11]
	v_add_f64_e32 v[50:51], v[76:77], v[66:67]
	;; [unrolled: 1-line block ×5, first 2 shown]
	v_add_nc_u32_e32 v86, 0x1400, v103
	v_fma_f64 v[70:71], v[74:75], s[10:11], v[32:33]
	v_fma_f64 v[32:33], v[74:75], s[4:5], v[32:33]
	;; [unrolled: 1-line block ×10, first 2 shown]
	v_add_nc_u32_e32 v74, 0x400, v103
	v_add_nc_u32_e32 v75, 0xc00, v103
	ds_store_2addr_b64 v109, v[10:11], v[70:71] offset1:16
	ds_store_b64 v109, v[32:33] offset:256
	ds_store_2addr_b64 v108, v[50:51], v[72:73] offset1:16
	ds_store_b64 v108, v[34:35] offset:256
	;; [unrolled: 2-line block ×5, first 2 shown]
	global_wb scope:SCOPE_SE
	s_wait_dscnt 0x0
	s_barrier_signal -1
	s_barrier_wait -1
	global_inv scope:SCOPE_SE
	ds_load_2addr_b64 v[8:11], v103 offset1:112
	ds_load_2addr_b64 v[80:83], v74 offset0:112 offset1:224
	ds_load_2addr_b64 v[76:79], v75 offset0:96 offset1:208
	;; [unrolled: 1-line block ×6, first 2 shown]
                                        ; implicit-def: $vgpr86_vgpr87
                                        ; implicit-def: $vgpr34_vgpr35
                                        ; implicit-def: $vgpr42_vgpr43
	s_and_saveexec_b32 s1, s0
	s_cbranch_execz .LBB0_47
; %bb.46:
	v_add_nc_u32_e32 v0, 0x700, v103
	v_add_nc_u32_e32 v32, 0x1600, v103
	;; [unrolled: 1-line block ×3, first 2 shown]
	ds_load_2addr_b64 v[0:3], v0 offset1:240
	ds_load_2addr_b64 v[40:43], v32 offset1:240
	;; [unrolled: 1-line block ×3, first 2 shown]
	ds_load_b64 v[86:87], v103 offset:13312
.LBB0_47:
	s_wait_alu 0xfffe
	s_or_b32 exec_lo, exec_lo, s1
	v_and_b32_e32 v48, 0xff, v102
	s_mov_b32 s16, 0x37e14327
	s_mov_b32 s4, 0x36b3c0b5
	;; [unrolled: 1-line block ×4, first 2 shown]
	v_mul_lo_u16 v48, 0xab, v48
	s_mov_b32 s5, 0x3fac98ee
	s_mov_b32 s19, 0xbfe11646
	;; [unrolled: 1-line block ×4, first 2 shown]
	v_lshrrev_b16 v101, 13, v48
	s_mov_b32 s11, 0x3febfeb5
	s_mov_b32 s13, 0x3fe77f67
	s_mov_b32 s15, 0xbfe77f67
	s_mov_b32 s14, s12
	v_mul_lo_u16 v48, v101, 48
	s_mov_b32 s22, 0xb247c609
	s_mov_b32 s26, 0xaaaaaaaa
	;; [unrolled: 1-line block ×4, first 2 shown]
	v_sub_nc_u16 v48, v102, v48
	s_mov_b32 s20, s22
	s_mov_b32 s27, 0xbff2aaaa
	;; [unrolled: 1-line block ×4, first 2 shown]
	v_and_b32_e32 v100, 0xff, v48
	s_delay_alu instid0(VALU_DEP_1) | instskip(SKIP_1) | instid1(VALU_DEP_2)
	v_mul_u32_u24_e32 v48, 6, v100
	v_lshlrev_b32_e32 v100, 3, v100
	v_lshlrev_b32_e32 v108, 4, v48
	v_and_b32_e32 v48, 0xff, v104
	global_load_b128 v[88:91], v108, s[8:9] offset:736
	v_mul_lo_u16 v48, 0xab, v48
	s_delay_alu instid0(VALU_DEP_1) | instskip(NEXT) | instid1(VALU_DEP_1)
	v_lshrrev_b16 v107, 13, v48
	v_mul_lo_u16 v48, v107, 48
	s_delay_alu instid0(VALU_DEP_1) | instskip(NEXT) | instid1(VALU_DEP_1)
	v_sub_nc_u16 v48, v104, v48
	v_and_b32_e32 v106, 0xff, v48
	s_delay_alu instid0(VALU_DEP_1) | instskip(SKIP_1) | instid1(VALU_DEP_2)
	v_mul_u32_u24_e32 v48, 6, v106
	v_lshlrev_b32_e32 v106, 3, v106
	v_lshlrev_b32_e32 v141, 4, v48
	s_clause 0xa
	global_load_b128 v[92:95], v141, s[8:9] offset:736
	global_load_b128 v[109:112], v108, s[8:9] offset:752
	;; [unrolled: 1-line block ×11, first 2 shown]
	v_and_b32_e32 v108, 0xffff, v105
	s_wait_loadcnt_dscnt 0xb05
	v_mul_f64_e32 v[145:146], v[80:81], v[90:91]
	v_mul_f64_e32 v[90:91], v[60:61], v[90:91]
	s_delay_alu instid0(VALU_DEP_2) | instskip(NEXT) | instid1(VALU_DEP_2)
	v_fma_f64 v[60:61], v[60:61], v[88:89], -v[145:146]
	v_fma_f64 v[88:89], v[80:81], v[88:89], v[90:91]
	s_wait_loadcnt 0xa
	v_mul_f64_e32 v[80:81], v[82:83], v[94:95]
	v_mul_f64_e32 v[90:91], v[62:63], v[94:95]
	s_wait_loadcnt_dscnt 0x904
	v_mul_f64_e32 v[94:95], v[76:77], v[111:112]
	v_mul_f64_e32 v[111:112], v[56:57], v[111:112]
	s_wait_loadcnt_dscnt 0x403
	v_mul_f64_e32 v[145:146], v[70:71], v[50:51]
	v_fma_f64 v[62:63], v[62:63], v[92:93], -v[80:81]
	v_mul_u32_u24_e32 v80, 0xaaab, v108
	v_fma_f64 v[56:57], v[56:57], v[109:110], -v[94:95]
	s_wait_dscnt 0x1
	v_mul_f64_e32 v[94:95], v[72:73], v[119:120]
	s_delay_alu instid0(VALU_DEP_3) | instskip(NEXT) | instid1(VALU_DEP_1)
	v_lshrrev_b32_e32 v80, 21, v80
	v_mul_lo_u16 v80, v80, 48
	s_delay_alu instid0(VALU_DEP_1) | instskip(NEXT) | instid1(VALU_DEP_1)
	v_sub_nc_u16 v80, v105, v80
	v_and_b32_e32 v108, 0xffff, v80
	v_fma_f64 v[80:81], v[82:83], v[92:93], v[90:91]
	s_delay_alu instid0(VALU_DEP_2) | instskip(NEXT) | instid1(VALU_DEP_1)
	v_mul_u32_u24_e32 v82, 6, v108
	v_lshlrev_b32_e32 v147, 4, v82
	v_fma_f64 v[82:83], v[76:77], v[109:110], v[111:112]
	v_mul_f64_e32 v[76:77], v[78:79], v[115:116]
	s_clause 0x1
	global_load_b128 v[90:93], v147, s[8:9] offset:752
	global_load_b128 v[109:112], v147, s[8:9] offset:768
	v_fma_f64 v[76:77], v[58:59], v[113:114], -v[76:77]
	v_mul_f64_e32 v[58:59], v[58:59], v[115:116]
	v_mul_f64_e32 v[115:116], v[74:75], v[123:124]
	s_delay_alu instid0(VALU_DEP_2)
	v_fma_f64 v[58:59], v[78:79], v[113:114], v[58:59]
	v_mul_f64_e32 v[113:114], v[52:53], v[119:120]
	v_mul_f64_e32 v[119:120], v[54:55], v[123:124]
	v_mul_f64_e32 v[123:124], v[68:69], v[127:128]
	v_fma_f64 v[78:79], v[52:53], v[117:118], -v[94:95]
	v_mul_f64_e32 v[94:95], v[24:25], v[127:128]
	v_fma_f64 v[52:53], v[54:55], v[121:122], -v[115:116]
	s_wait_loadcnt 0x4
	v_mul_f64_e32 v[127:128], v[22:23], v[135:136]
	v_fma_f64 v[72:73], v[72:73], v[117:118], v[113:114]
	global_load_b128 v[113:116], v147, s[8:9] offset:736
	v_mul_f64_e32 v[117:118], v[26:27], v[50:51]
	v_fma_f64 v[54:55], v[74:75], v[121:122], v[119:120]
	v_mul_f64_e32 v[121:122], v[20:21], v[131:132]
	v_mul_f64_e32 v[74:75], v[64:65], v[131:132]
	v_fma_f64 v[24:25], v[24:25], v[125:126], -v[123:124]
	v_fma_f64 v[68:69], v[68:69], v[125:126], v[94:95]
	s_wait_loadcnt_dscnt 0x400
	v_mul_f64_e32 v[131:132], v[36:37], v[139:140]
	s_wait_loadcnt 0x3
	v_mul_f64_e32 v[94:95], v[38:39], v[143:144]
	v_fma_f64 v[26:27], v[26:27], v[48:49], -v[145:146]
	v_fma_f64 v[50:51], v[70:71], v[48:49], v[117:118]
	global_load_b128 v[117:120], v147, s[8:9] offset:784
	v_fma_f64 v[70:71], v[64:65], v[129:130], v[121:122]
	global_load_b128 v[121:124], v147, s[8:9] offset:800
	;; [unrolled: 2-line block ×3, first 2 shown]
	v_fma_f64 v[20:21], v[20:21], v[129:130], -v[74:75]
	v_mul_f64_e32 v[74:75], v[66:67], v[135:136]
	v_mul_f64_e32 v[129:130], v[44:45], v[139:140]
	v_fma_f64 v[66:67], v[44:45], v[137:138], -v[131:132]
	v_fma_f64 v[44:45], v[46:47], v[141:142], -v[94:95]
	v_mul_f64_e32 v[46:47], v[46:47], v[143:144]
	v_add_f64_e32 v[135:136], v[56:57], v[78:79]
	global_wb scope:SCOPE_SE
	s_wait_loadcnt 0x0
	s_barrier_signal -1
	s_barrier_wait -1
	global_inv scope:SCOPE_SE
	v_add_f64_e64 v[143:144], v[64:65], -v[50:51]
	v_add_f64_e32 v[139:140], v[24:25], v[20:21]
	v_fma_f64 v[22:23], v[22:23], v[133:134], -v[74:75]
	v_fma_f64 v[94:95], v[36:37], v[137:138], v[129:130]
	v_add_f64_e32 v[131:132], v[60:61], v[66:67]
	v_add_f64_e64 v[74:75], v[70:71], -v[68:69]
	v_add_f64_e32 v[133:134], v[62:63], v[44:45]
	v_add_f64_e32 v[137:138], v[76:77], v[52:53]
	v_add_f64_e64 v[145:146], v[88:89], -v[94:95]
	v_mul_f64_e32 v[36:37], v[40:41], v[92:93]
	v_mul_f64_e32 v[129:130], v[28:29], v[92:93]
	;; [unrolled: 1-line block ×4, first 2 shown]
	v_fma_f64 v[92:93], v[38:39], v[141:142], v[46:47]
	v_add_f64_e64 v[46:47], v[82:83], -v[72:73]
	v_add_f64_e64 v[141:142], v[58:59], -v[54:55]
	v_fma_f64 v[36:37], v[28:29], v[90:91], -v[36:37]
	v_fma_f64 v[38:39], v[40:41], v[90:91], v[129:130]
	v_add_f64_e32 v[28:29], v[135:136], v[131:132]
	v_add_f64_e32 v[90:91], v[26:27], v[22:23]
	v_fma_f64 v[30:31], v[30:31], v[109:110], -v[48:49]
	v_add_f64_e32 v[48:49], v[74:75], v[46:47]
	v_fma_f64 v[40:41], v[42:43], v[109:110], v[111:112]
	v_add_f64_e32 v[42:43], v[137:138], v[133:134]
	v_add_f64_e64 v[109:110], v[131:132], -v[139:140]
	v_add_f64_e64 v[111:112], v[139:140], -v[135:136]
	;; [unrolled: 1-line block ×5, first 2 shown]
	v_add_f64_e32 v[147:148], v[143:144], v[141:142]
	v_add_f64_e64 v[46:47], v[46:47], -v[145:146]
	v_add_f64_e64 v[74:75], v[145:146], -v[74:75]
	v_add_f64_e32 v[28:29], v[139:140], v[28:29]
	v_add_f64_e64 v[139:140], v[137:138], -v[133:134]
	v_add_f64_e64 v[133:134], v[133:134], -v[90:91]
	;; [unrolled: 1-line block ×3, first 2 shown]
	v_add_f64_e32 v[48:49], v[48:49], v[145:146]
	v_add_f64_e64 v[145:146], v[143:144], -v[141:142]
	v_add_f64_e32 v[42:43], v[90:91], v[42:43]
	v_mul_f64_e32 v[90:91], s[16:17], v[109:110]
	s_wait_alu 0xfffe
	v_mul_f64_e32 v[109:110], s[4:5], v[111:112]
	v_add_f64_e64 v[141:142], v[141:142], -v[129:130]
	v_mul_f64_e32 v[135:136], s[18:19], v[135:136]
	v_add_f64_e64 v[143:144], v[129:130], -v[143:144]
	v_add_f64_e32 v[129:130], v[147:148], v[129:130]
	v_mul_f64_e32 v[147:148], s[10:11], v[46:47]
	v_add_f64_e32 v[16:17], v[16:17], v[28:29]
	v_mul_f64_e32 v[133:134], s[16:17], v[133:134]
	v_mul_f64_e32 v[145:146], s[18:19], v[145:146]
	v_add_f64_e32 v[18:19], v[18:19], v[42:43]
	v_fma_f64 v[111:112], v[111:112], s[4:5], v[90:91]
	v_fma_f64 v[109:110], v[131:132], s[12:13], -v[109:110]
	v_fma_f64 v[90:91], v[131:132], s[14:15], -v[90:91]
	v_mul_f64_e32 v[131:132], s[10:11], v[141:142]
	v_fma_f64 v[149:150], v[46:47], s[10:11], -v[135:136]
	v_mul_f64_e32 v[46:47], s[4:5], v[137:138]
	v_fma_f64 v[135:136], v[74:75], s[22:23], v[135:136]
	v_fma_f64 v[74:75], v[74:75], s[20:21], -v[147:148]
	v_fma_f64 v[28:29], v[28:29], s[26:27], v[16:17]
	v_fma_f64 v[137:138], v[137:138], s[4:5], v[133:134]
	v_fma_f64 v[133:134], v[139:140], s[14:15], -v[133:134]
	v_fma_f64 v[141:142], v[141:142], s[10:11], -v[145:146]
	v_fma_f64 v[145:146], v[143:144], s[22:23], v[145:146]
	v_fma_f64 v[131:132], v[143:144], s[20:21], -v[131:132]
	v_mul_f64_e32 v[143:144], v[2:3], v[115:116]
	v_fma_f64 v[147:148], v[139:140], s[12:13], -v[46:47]
	v_mul_f64_e32 v[46:47], v[6:7], v[115:116]
	v_fma_f64 v[115:116], v[42:43], s[26:27], v[18:19]
	v_add_f64_e32 v[111:112], v[111:112], v[28:29]
	v_add_f64_e32 v[109:110], v[109:110], v[28:29]
	;; [unrolled: 1-line block ×3, first 2 shown]
	v_fma_f64 v[141:142], v[129:130], s[24:25], v[141:142]
	v_fma_f64 v[139:140], v[129:130], s[24:25], v[145:146]
	;; [unrolled: 1-line block ×3, first 2 shown]
	v_fma_f64 v[42:43], v[6:7], v[113:114], -v[143:144]
	v_mul_f64_e32 v[6:7], v[12:13], v[119:120]
	v_fma_f64 v[46:47], v[2:3], v[113:114], v[46:47]
	v_mul_f64_e32 v[2:3], v[32:33], v[119:120]
	v_fma_f64 v[113:114], v[48:49], s[24:25], v[135:136]
	v_fma_f64 v[135:136], v[48:49], s[24:25], v[74:75]
	v_mul_f64_e32 v[74:75], v[34:35], v[123:124]
	v_mul_f64_e32 v[123:124], v[14:15], v[123:124]
	;; [unrolled: 1-line block ×4, first 2 shown]
	v_fma_f64 v[119:120], v[48:49], s[24:25], v[149:150]
	v_add_f64_e32 v[137:138], v[137:138], v[115:116]
	v_add_f64_e32 v[133:134], v[133:134], v[115:116]
	;; [unrolled: 1-line block ×3, first 2 shown]
	v_fma_f64 v[32:33], v[32:33], v[117:118], v[6:7]
	v_fma_f64 v[48:49], v[12:13], v[117:118], -v[2:3]
	v_add_f64_e32 v[2:3], v[113:114], v[111:112]
	v_add_f64_e32 v[6:7], v[135:136], v[28:29]
	v_fma_f64 v[74:75], v[14:15], v[121:122], -v[74:75]
	v_fma_f64 v[90:91], v[34:35], v[121:122], v[123:124]
	v_fma_f64 v[34:35], v[84:85], v[125:126], -v[131:132]
	v_fma_f64 v[84:85], v[86:87], v[125:126], v[127:128]
	v_add_f64_e64 v[12:13], v[109:110], -v[119:120]
	v_add_f64_e32 v[14:15], v[119:120], v[109:110]
	v_add_f64_e64 v[28:29], v[28:29], -v[135:136]
	v_add_f64_e64 v[109:110], v[111:112], -v[113:114]
	v_add_f64_e32 v[111:112], v[139:140], v[137:138]
	v_add_f64_e32 v[113:114], v[129:130], v[133:134]
	v_add_f64_e64 v[117:118], v[115:116], -v[141:142]
	v_add_f64_e32 v[115:116], v[141:142], v[115:116]
	v_add_f64_e64 v[119:120], v[133:134], -v[129:130]
	v_add_f64_e64 v[121:122], v[137:138], -v[139:140]
	v_and_b32_e32 v86, 0xffff, v101
	v_and_b32_e32 v87, 0xffff, v107
	s_delay_alu instid0(VALU_DEP_2) | instskip(NEXT) | instid1(VALU_DEP_2)
	v_mul_u32_u24_e32 v101, 0xa80, v86
	v_mul_u32_u24_e32 v87, 0xa80, v87
	v_lshl_add_u32 v86, v108, 3, 0
	s_delay_alu instid0(VALU_DEP_3) | instskip(NEXT) | instid1(VALU_DEP_3)
	v_add3_u32 v100, 0, v101, v100
	v_add3_u32 v87, 0, v87, v106
	ds_store_2addr_b64 v100, v[16:17], v[2:3] offset1:48
	ds_store_2addr_b64 v100, v[6:7], v[12:13] offset0:96 offset1:144
	ds_store_2addr_b64 v100, v[14:15], v[28:29] offset0:192 offset1:240
	ds_store_b64 v100, v[109:110] offset:2304
	ds_store_2addr_b64 v87, v[18:19], v[111:112] offset1:48
	ds_store_2addr_b64 v87, v[113:114], v[117:118] offset0:96 offset1:144
	ds_store_2addr_b64 v87, v[115:116], v[119:120] offset0:192 offset1:240
	ds_store_b64 v87, v[121:122] offset:2304
	s_and_saveexec_b32 s1, s0
	s_cbranch_execz .LBB0_49
; %bb.48:
	v_add_f64_e32 v[2:3], v[42:43], v[34:35]
	v_add_f64_e32 v[6:7], v[36:37], v[74:75]
	v_add_f64_e64 v[12:13], v[32:33], -v[40:41]
	v_add_f64_e64 v[14:15], v[38:39], -v[90:91]
	v_add_f64_e32 v[16:17], v[30:31], v[48:49]
	v_add_f64_e64 v[18:19], v[46:47], -v[84:85]
	v_add_f64_e32 v[28:29], v[6:7], v[2:3]
	s_delay_alu instid0(VALU_DEP_4) | instskip(NEXT) | instid1(VALU_DEP_4)
	v_add_f64_e64 v[106:107], v[12:13], -v[14:15]
	v_add_f64_e64 v[108:109], v[2:3], -v[16:17]
	s_delay_alu instid0(VALU_DEP_4)
	v_add_f64_e64 v[110:111], v[14:15], -v[18:19]
	v_add_f64_e64 v[112:113], v[18:19], -v[12:13]
	v_add_f64_e32 v[12:13], v[12:13], v[14:15]
	v_add_f64_e64 v[2:3], v[6:7], -v[2:3]
	v_add_f64_e32 v[28:29], v[16:17], v[28:29]
	v_add_f64_e64 v[16:17], v[16:17], -v[6:7]
	v_mul_f64_e32 v[6:7], s[18:19], v[106:107]
	v_mul_f64_e32 v[14:15], s[16:17], v[108:109]
	;; [unrolled: 1-line block ×3, first 2 shown]
	v_add_f64_e32 v[12:13], v[12:13], v[18:19]
	v_add_f64_e32 v[4:5], v[4:5], v[28:29]
	v_mul_f64_e32 v[108:109], s[4:5], v[16:17]
	v_fma_f64 v[18:19], v[112:113], s[22:23], v[6:7]
	v_fma_f64 v[114:115], v[2:3], s[14:15], -v[14:15]
	v_fma_f64 v[14:15], v[16:17], s[4:5], v[14:15]
	v_fma_f64 v[106:107], v[112:113], s[20:21], -v[106:107]
	v_fma_f64 v[6:7], v[110:111], s[10:11], -v[6:7]
	v_fma_f64 v[28:29], v[28:29], s[26:27], v[4:5]
	v_fma_f64 v[2:3], v[2:3], s[12:13], -v[108:109]
	v_fma_f64 v[16:17], v[12:13], s[24:25], v[18:19]
	v_fma_f64 v[18:19], v[12:13], s[24:25], v[106:107]
	;; [unrolled: 1-line block ×3, first 2 shown]
	v_add_f64_e32 v[14:15], v[14:15], v[28:29]
	v_add_f64_e32 v[12:13], v[114:115], v[28:29]
	v_add_f64_e32 v[2:3], v[2:3], v[28:29]
	s_delay_alu instid0(VALU_DEP_3) | instskip(NEXT) | instid1(VALU_DEP_3)
	v_add_f64_e32 v[108:109], v[16:17], v[14:15]
	v_add_f64_e64 v[28:29], v[12:13], -v[18:19]
	s_delay_alu instid0(VALU_DEP_3)
	v_add_f64_e64 v[106:107], v[2:3], -v[6:7]
	v_add_f64_e32 v[12:13], v[18:19], v[12:13]
	v_add_f64_e32 v[2:3], v[6:7], v[2:3]
	v_add_f64_e64 v[6:7], v[14:15], -v[16:17]
	v_add_nc_u32_e32 v14, 0x2800, v86
	v_add_nc_u32_e32 v15, 0x3000, v86
	ds_store_2addr_b64 v14, v[4:5], v[108:109] offset0:64 offset1:112
	ds_store_2addr_b64 v14, v[12:13], v[106:107] offset0:160 offset1:208
	ds_store_2addr_b64 v15, v[2:3], v[28:29] offset1:48
	ds_store_b64 v86, v[6:7] offset:13056
.LBB0_49:
	s_wait_alu 0xfffe
	s_or_b32 exec_lo, exec_lo, s1
	v_add_f64_e32 v[2:3], v[88:89], v[94:95]
	v_add_f64_e32 v[4:5], v[82:83], v[72:73]
	;; [unrolled: 1-line block ×5, first 2 shown]
	v_add_f64_e64 v[16:17], v[56:57], -v[78:79]
	v_add_f64_e64 v[18:19], v[20:21], -v[24:25]
	;; [unrolled: 1-line block ×4, first 2 shown]
	v_add_f64_e32 v[50:51], v[50:51], v[64:65]
	v_add_f64_e64 v[22:23], v[22:23], -v[26:27]
	v_add_f64_e64 v[26:27], v[62:63], -v[44:45]
	global_wb scope:SCOPE_SE
	s_wait_dscnt 0x0
	s_barrier_signal -1
	s_barrier_wait -1
	global_inv scope:SCOPE_SE
	v_add_f64_e32 v[24:25], v[4:5], v[2:3]
	v_add_f64_e32 v[44:45], v[12:13], v[6:7]
	v_add_f64_e64 v[52:53], v[2:3], -v[14:15]
	v_add_f64_e64 v[54:55], v[14:15], -v[4:5]
	v_add_f64_e64 v[56:57], v[18:19], -v[16:17]
	v_add_f64_e64 v[58:59], v[16:17], -v[20:21]
	v_add_f64_e64 v[2:3], v[4:5], -v[2:3]
	v_add_f64_e32 v[4:5], v[18:19], v[16:17]
	v_add_f64_e64 v[60:61], v[22:23], -v[28:29]
	v_add_f64_e64 v[62:63], v[28:29], -v[26:27]
	;; [unrolled: 1-line block ×3, first 2 shown]
	v_add_f64_e32 v[18:19], v[22:23], v[28:29]
	v_add_f64_e32 v[14:15], v[14:15], v[24:25]
	v_add_f64_e64 v[24:25], v[6:7], -v[50:51]
	v_add_f64_e32 v[44:45], v[50:51], v[44:45]
	v_add_f64_e64 v[50:51], v[50:51], -v[12:13]
	v_mul_f64_e32 v[28:29], s[16:17], v[52:53]
	v_mul_f64_e32 v[52:53], s[4:5], v[54:55]
	;; [unrolled: 1-line block ×4, first 2 shown]
	v_add_f64_e64 v[6:7], v[12:13], -v[6:7]
	v_add_f64_e32 v[4:5], v[4:5], v[20:21]
	v_add_f64_e32 v[12:13], v[18:19], v[26:27]
	;; [unrolled: 1-line block ×3, first 2 shown]
	v_add_f64_e64 v[8:9], v[26:27], -v[22:23]
	v_mul_f64_e32 v[22:23], s[16:17], v[24:25]
	v_mul_f64_e32 v[24:25], s[18:19], v[60:61]
	;; [unrolled: 1-line block ×3, first 2 shown]
	v_add_f64_e32 v[68:69], v[10:11], v[44:45]
	v_mul_f64_e32 v[10:11], s[4:5], v[50:51]
	v_fma_f64 v[18:19], v[54:55], s[4:5], v[28:29]
	v_fma_f64 v[20:21], v[2:3], s[12:13], -v[52:53]
	v_fma_f64 v[26:27], v[16:17], s[22:23], v[56:57]
	v_fma_f64 v[52:53], v[58:59], s[10:11], -v[56:57]
	v_fma_f64 v[16:17], v[16:17], s[20:21], -v[64:65]
	;; [unrolled: 1-line block ×3, first 2 shown]
	v_fma_f64 v[14:15], v[14:15], s[26:27], v[66:67]
	v_fma_f64 v[28:29], v[50:51], s[4:5], v[22:23]
	;; [unrolled: 1-line block ×3, first 2 shown]
	v_fma_f64 v[24:25], v[62:63], s[10:11], -v[24:25]
	v_fma_f64 v[8:9], v[8:9], s[20:21], -v[60:61]
	v_fma_f64 v[44:45], v[44:45], s[26:27], v[68:69]
	v_fma_f64 v[22:23], v[6:7], s[14:15], -v[22:23]
	v_fma_f64 v[6:7], v[6:7], s[12:13], -v[10:11]
	v_fma_f64 v[10:11], v[4:5], s[24:25], v[26:27]
	v_fma_f64 v[26:27], v[4:5], s[24:25], v[52:53]
	;; [unrolled: 1-line block ×3, first 2 shown]
	v_add_f64_e32 v[16:17], v[18:19], v[14:15]
	v_add_f64_e32 v[2:3], v[2:3], v[14:15]
	;; [unrolled: 1-line block ×3, first 2 shown]
	v_fma_f64 v[18:19], v[12:13], s[24:25], v[50:51]
	v_fma_f64 v[20:21], v[12:13], s[24:25], v[24:25]
	;; [unrolled: 1-line block ×3, first 2 shown]
	v_add_f64_e32 v[12:13], v[28:29], v[44:45]
	v_add_f64_e32 v[22:23], v[22:23], v[44:45]
	v_add_f64_e32 v[6:7], v[6:7], v[44:45]
	v_add_f64_e64 v[44:45], v[16:17], -v[10:11]
	v_add_f64_e64 v[50:51], v[2:3], -v[4:5]
	v_add_f64_e32 v[52:53], v[26:27], v[14:15]
	v_add_f64_e64 v[54:55], v[14:15], -v[26:27]
	v_add_f64_e32 v[56:57], v[4:5], v[2:3]
	v_add_f64_e32 v[58:59], v[10:11], v[16:17]
	v_add_f64_e64 v[60:61], v[12:13], -v[18:19]
	v_add_f64_e64 v[62:63], v[22:23], -v[8:9]
	v_add_f64_e32 v[64:65], v[20:21], v[6:7]
	v_add_f64_e64 v[70:71], v[6:7], -v[20:21]
	v_add_f64_e32 v[72:73], v[8:9], v[22:23]
	v_add_f64_e32 v[76:77], v[18:19], v[12:13]
	v_add_nc_u32_e32 v6, 0x400, v103
	v_add_nc_u32_e32 v10, 0x1400, v103
	;; [unrolled: 1-line block ×6, first 2 shown]
	ds_load_2addr_b64 v[2:5], v103 offset1:112
	ds_load_b64 v[78:79], v103 offset:12544
	ds_load_2addr_b64 v[6:9], v6 offset0:96 offset1:208
	ds_load_2addr_b64 v[10:13], v10 offset0:32 offset1:144
	;; [unrolled: 1-line block ×6, first 2 shown]
	global_wb scope:SCOPE_SE
	s_wait_dscnt 0x0
	s_barrier_signal -1
	s_barrier_wait -1
	global_inv scope:SCOPE_SE
	ds_store_2addr_b64 v100, v[66:67], v[44:45] offset1:48
	ds_store_2addr_b64 v100, v[50:51], v[52:53] offset0:96 offset1:144
	ds_store_2addr_b64 v100, v[54:55], v[56:57] offset0:192 offset1:240
	ds_store_b64 v100, v[58:59] offset:2304
	ds_store_2addr_b64 v87, v[68:69], v[60:61] offset1:48
	ds_store_2addr_b64 v87, v[62:63], v[64:65] offset0:96 offset1:144
	ds_store_2addr_b64 v87, v[70:71], v[72:73] offset0:192 offset1:240
	ds_store_b64 v87, v[76:77] offset:2304
	s_and_saveexec_b32 s1, s0
	s_cbranch_execz .LBB0_51
; %bb.50:
	v_add_f64_e32 v[44:45], v[46:47], v[84:85]
	v_add_f64_e32 v[38:39], v[38:39], v[90:91]
	;; [unrolled: 1-line block ×3, first 2 shown]
	v_add_f64_e64 v[36:37], v[36:37], -v[74:75]
	v_add_f64_e64 v[30:31], v[48:49], -v[30:31]
	;; [unrolled: 1-line block ×3, first 2 shown]
	s_mov_b32 s4, 0x37e14327
	s_mov_b32 s5, 0x3fe948f6
	;; [unrolled: 1-line block ×10, first 2 shown]
	v_add_f64_e32 v[40:41], v[38:39], v[44:45]
	v_add_f64_e64 v[42:43], v[44:45], -v[32:33]
	v_add_f64_e64 v[46:47], v[32:33], -v[38:39]
	;; [unrolled: 1-line block ×5, first 2 shown]
	v_add_f64_e32 v[36:37], v[30:31], v[36:37]
	v_add_f64_e64 v[30:31], v[34:35], -v[30:31]
	v_add_f64_e32 v[32:33], v[32:33], v[40:41]
	s_wait_alu 0xfffe
	v_mul_f64_e32 v[40:41], s[4:5], v[42:43]
	s_mov_b32 s4, 0x429ad128
	v_mul_f64_e32 v[44:45], s[12:13], v[48:49]
	s_mov_b32 s5, 0x3febfeb5
	v_mul_f64_e32 v[42:43], s[10:11], v[46:47]
	s_wait_alu 0xfffe
	v_mul_f64_e32 v[48:49], s[4:5], v[50:51]
	s_mov_b32 s12, 0xaaaaaaaa
	s_mov_b32 s13, 0xbff2aaaa
	v_add_f64_e32 v[34:35], v[36:37], v[34:35]
	v_add_f64_e32 v[0:1], v[0:1], v[32:33]
	v_fma_f64 v[36:37], v[46:47], s[10:11], v[40:41]
	v_fma_f64 v[46:47], v[30:31], s[16:17], v[44:45]
	s_mov_b32 s17, 0xbfd5d0dc
	v_fma_f64 v[42:43], v[38:39], s[14:15], -v[42:43]
	s_mov_b32 s15, 0xbfe77f67
	v_fma_f64 v[44:45], v[50:51], s[4:5], -v[44:45]
	s_wait_alu 0xfffe
	v_fma_f64 v[30:31], v[30:31], s[16:17], -v[48:49]
	v_fma_f64 v[38:39], v[38:39], s[14:15], -v[40:41]
	s_mov_b32 s4, 0x37c3f68c
	s_mov_b32 s5, 0x3fdc38aa
	v_fma_f64 v[32:33], v[32:33], s[12:13], v[0:1]
	s_wait_alu 0xfffe
	v_fma_f64 v[40:41], v[34:35], s[4:5], v[46:47]
	v_fma_f64 v[44:45], v[34:35], s[4:5], v[44:45]
	;; [unrolled: 1-line block ×3, first 2 shown]
	s_delay_alu instid0(VALU_DEP_4) | instskip(SKIP_2) | instid1(VALU_DEP_3)
	v_add_f64_e32 v[34:35], v[36:37], v[32:33]
	v_add_f64_e32 v[36:37], v[38:39], v[32:33]
	;; [unrolled: 1-line block ×3, first 2 shown]
	v_add_f64_e64 v[38:39], v[34:35], -v[40:41]
	s_delay_alu instid0(VALU_DEP_3) | instskip(NEXT) | instid1(VALU_DEP_3)
	v_add_f64_e64 v[42:43], v[36:37], -v[30:31]
	v_add_f64_e32 v[46:47], v[44:45], v[32:33]
	v_add_f64_e64 v[32:33], v[32:33], -v[44:45]
	v_add_f64_e32 v[30:31], v[30:31], v[36:37]
	v_add_f64_e32 v[34:35], v[40:41], v[34:35]
	v_add_nc_u32_e32 v36, 0x2800, v86
	v_add_nc_u32_e32 v37, 0x3000, v86
	ds_store_2addr_b64 v36, v[0:1], v[38:39] offset0:64 offset1:112
	ds_store_2addr_b64 v36, v[42:43], v[46:47] offset0:160 offset1:208
	ds_store_2addr_b64 v37, v[32:33], v[30:31] offset1:48
	ds_store_b64 v86, v[34:35] offset:13056
.LBB0_51:
	s_wait_alu 0xfffe
	s_or_b32 exec_lo, exec_lo, s1
	global_wb scope:SCOPE_SE
	s_wait_dscnt 0x0
	s_barrier_signal -1
	s_barrier_wait -1
	global_inv scope:SCOPE_SE
	s_and_saveexec_b32 s0, vcc_lo
	s_cbranch_execz .LBB0_53
; %bb.52:
	v_dual_mov_b32 v1, 0 :: v_dual_lshlrev_b32 v0, 2, v105
	v_lshrrev_b32_e32 v115, 4, v102
	v_add_nc_u32_e32 v123, 0xe0, v102
	v_mul_lo_u32 v116, s3, v98
	v_mul_lo_u32 v118, s2, v99
	v_lshlrev_b64_e32 v[30:31], 4, v[0:1]
	v_lshlrev_b32_e32 v0, 2, v104
	v_mul_hi_u32 v122, 0x18618619, v115
	v_mov_b32_e32 v115, v1
	v_mov_b32_e32 v117, v1
	v_mad_co_u64_u32 v[111:112], null, s2, v98, 0
	v_lshlrev_b64_e32 v[32:33], 4, v[0:1]
	v_lshlrev_b32_e32 v0, 2, v102
	v_add_co_u32 v30, vcc_lo, s8, v30
	s_wait_alu 0xfffd
	v_add_co_ci_u32_e32 v31, vcc_lo, s9, v31, vcc_lo
	s_delay_alu instid0(VALU_DEP_3)
	v_lshlrev_b64_e32 v[56:57], 4, v[0:1]
	v_add_co_u32 v54, vcc_lo, s8, v32
	s_wait_alu 0xfffd
	v_add_co_ci_u32_e32 v55, vcc_lo, s9, v33, vcc_lo
	global_load_b128 v[46:49], v[30:31], off offset:5344
	v_add_co_u32 v74, vcc_lo, s8, v56
	s_wait_alu 0xfffd
	v_add_co_ci_u32_e32 v75, vcc_lo, s9, v57, vcc_lo
	s_clause 0xa
	global_load_b128 v[42:45], v[30:31], off offset:5360
	global_load_b128 v[34:37], v[30:31], off offset:5376
	;; [unrolled: 1-line block ×11, first 2 shown]
	v_dual_mov_b32 v119, v1 :: v_dual_add_nc_u32 v0, 0xc00, v103
	v_add_nc_u32_e32 v107, 0x400, v103
	v_lshrrev_b32_e32 v120, 4, v123
	v_add_nc_u32_e32 v88, 0x1800, v103
	v_add_nc_u32_e32 v92, 0x2000, v103
	;; [unrolled: 1-line block ×4, first 2 shown]
	ds_load_b64 v[100:101], v103 offset:12544
	ds_load_2addr_b64 v[80:83], v103 offset1:112
	v_lshlrev_b64_e32 v[113:114], 4, v[96:97]
	v_add3_u32 v112, v112, v118, v116
	v_mul_hi_u32 v116, 0x18618619, v120
	v_mov_b32_e32 v120, v1
	ds_load_2addr_b64 v[84:87], v0 offset0:64 offset1:176
	ds_load_2addr_b64 v[88:91], v88 offset0:128 offset1:240
	;; [unrolled: 1-line block ×5, first 2 shown]
	v_lshrrev_b32_e32 v118, 1, v122
	v_mov_b32_e32 v122, v1
	ds_load_2addr_b64 v[107:110], v107 offset0:96 offset1:208
	v_lshlrev_b64_e32 v[111:112], 4, v[111:112]
	v_dual_mov_b32 v124, v1 :: v_dual_add_nc_u32 v121, 0x70, v102
	v_lshrrev_b32_e32 v149, 1, v116
	v_mul_u32_u24_e32 v118, 0x150, v118
	s_mov_b32 s4, 0x134454ff
	s_delay_alu instid0(VALU_DEP_4)
	v_add_co_u32 v147, vcc_lo, s6, v111
	s_wait_alu 0xfffd
	v_add_co_ci_u32_e32 v148, vcc_lo, s7, v112, vcc_lo
	v_lshrrev_b32_e32 v0, 4, v121
	v_sub_nc_u32_e32 v102, v102, v118
	v_add_co_u32 v163, vcc_lo, v147, v113
	s_wait_alu 0xfffd
	v_add_co_ci_u32_e32 v164, vcc_lo, v148, v114, vcc_lo
	v_mul_hi_u32 v0, 0x18618619, v0
	v_lshlrev_b32_e32 v102, 4, v102
	v_mul_u32_u24_e32 v118, 0x150, v149
	s_mov_b32 s5, 0xbfee6f0e
	s_mov_b32 s9, 0x3fee6f0e
	s_wait_alu 0xfffe
	s_mov_b32 s8, s4
	s_mov_b32 s2, 0x4755a5e
	v_sub_nc_u32_e32 v113, v123, v118
	v_lshrrev_b32_e32 v0, 1, v0
	s_mov_b32 s3, 0x3fe2cf23
	s_mov_b32 s11, 0xbfe2cf23
	s_wait_alu 0xfffe
	s_mov_b32 s10, s2
	s_mov_b32 s0, 0x372fe950
	v_mul_u32_u24_e32 v116, 0x150, v0
	s_mov_b32 s1, 0x3fd3c6ef
	s_delay_alu instid0(VALU_DEP_1) | instskip(NEXT) | instid1(VALU_DEP_1)
	v_sub_nc_u32_e32 v116, v121, v116
	v_mad_u32_u24 v0, 0x690, v0, v116
	s_delay_alu instid0(VALU_DEP_1)
	v_add_nc_u32_e32 v114, 0x150, v0
	v_lshlrev_b64_e32 v[147:148], 4, v[0:1]
	v_add_nc_u32_e32 v116, 0x2a0, v0
	v_add_nc_u32_e32 v118, 0x3f0, v0
	v_add_nc_u32_e32 v0, 0x540, v0
	s_wait_loadcnt_dscnt 0xa04
	v_mul_f64_e32 v[125:126], v[42:43], v[88:89]
	v_mul_f64_e32 v[111:112], v[46:47], v[86:87]
	;; [unrolled: 1-line block ×4, first 2 shown]
	s_wait_loadcnt_dscnt 0x903
	v_mul_f64_e32 v[127:128], v[34:35], v[94:95]
	v_mul_f64_e32 v[94:95], v[36:37], v[94:95]
	s_wait_loadcnt 0x8
	v_mul_f64_e32 v[129:130], v[32:33], v[100:101]
	v_mul_f64_e32 v[100:101], v[30:31], v[100:101]
	s_wait_loadcnt_dscnt 0x702
	v_mul_f64_e32 v[131:132], v[38:39], v[98:99]
	s_wait_loadcnt 0x6
	v_mul_f64_e32 v[133:134], v[58:59], v[84:85]
	s_wait_loadcnt 0x5
	v_mul_f64_e32 v[135:136], v[50:51], v[92:93]
	s_wait_loadcnt_dscnt 0x401
	v_mul_f64_e32 v[137:138], v[56:57], v[105:106]
	v_mul_f64_e32 v[98:99], v[40:41], v[98:99]
	;; [unrolled: 1-line block ×4, first 2 shown]
	s_wait_loadcnt 0x3
	v_mul_f64_e32 v[139:140], v[62:63], v[96:97]
	s_wait_loadcnt_dscnt 0x200
	v_mul_f64_e32 v[141:142], v[70:71], v[109:110]
	s_wait_loadcnt 0x1
	v_mul_f64_e32 v[143:144], v[66:67], v[103:104]
	s_wait_loadcnt 0x0
	v_mul_f64_e32 v[145:146], v[74:75], v[90:91]
	v_mul_f64_e32 v[96:97], v[64:65], v[96:97]
	;; [unrolled: 1-line block ×6, first 2 shown]
	v_fma_f64 v[44:45], v[14:15], v[44:45], v[125:126]
	v_fma_f64 v[48:49], v[28:29], v[48:49], v[111:112]
	v_fma_f64 v[28:29], v[28:29], v[46:47], -v[86:87]
	v_fma_f64 v[14:15], v[14:15], v[42:43], -v[88:89]
	v_fma_f64 v[36:37], v[24:25], v[36:37], v[127:128]
	v_fma_f64 v[24:25], v[24:25], v[34:35], -v[94:95]
	v_fma_f64 v[30:31], v[78:79], v[30:31], -v[129:130]
	v_fma_f64 v[32:33], v[78:79], v[32:33], v[100:101]
	v_fma_f64 v[34:35], v[12:13], v[40:41], v[131:132]
	;; [unrolled: 1-line block ×4, first 2 shown]
	v_fma_f64 v[46:47], v[20:21], v[54:55], -v[137:138]
	v_fma_f64 v[12:13], v[12:13], v[38:39], -v[98:99]
	;; [unrolled: 1-line block ×3, first 2 shown]
	v_fma_f64 v[20:21], v[20:21], v[56:57], v[105:106]
	v_fma_f64 v[38:39], v[10:11], v[64:65], v[139:140]
	;; [unrolled: 1-line block ×5, first 2 shown]
	v_fma_f64 v[10:11], v[10:11], v[62:63], -v[96:97]
	v_fma_f64 v[16:17], v[16:17], v[74:75], -v[90:91]
	;; [unrolled: 1-line block ×5, first 2 shown]
	v_add_co_u32 v62, vcc_lo, v163, v102
	v_lshlrev_b64_e32 v[58:59], 4, v[114:115]
	s_wait_alu 0xfffd
	v_add_co_ci_u32_e32 v63, vcc_lo, 0, v164, vcc_lo
	v_lshlrev_b64_e32 v[60:61], 4, v[116:117]
	v_add_co_u32 v66, vcc_lo, v163, v147
	s_wait_alu 0xfffd
	v_add_co_ci_u32_e32 v67, vcc_lo, v164, v148, vcc_lo
	v_add_co_u32 v70, vcc_lo, v163, v58
	s_wait_alu 0xfffd
	v_add_co_ci_u32_e32 v71, vcc_lo, v164, v59, vcc_lo
	;; [unrolled: 3-line block ×3, first 2 shown]
	v_add_f64_e32 v[76:77], v[44:45], v[36:37]
	v_add_f64_e32 v[60:61], v[14:15], v[24:25]
	;; [unrolled: 1-line block ×5, first 2 shown]
	v_lshlrev_b64_e32 v[56:57], 4, v[0:1]
	v_add_f64_e32 v[92:93], v[34:35], v[42:43]
	v_mad_u32_u24 v0, 0x690, v149, v113
	v_lshlrev_b64_e32 v[64:65], 4, v[118:119]
	v_add_f64_e32 v[111:112], v[12:13], v[22:23]
	v_add_f64_e32 v[90:91], v[40:41], v[20:21]
	v_add_f64_e64 v[151:152], v[46:47], -v[22:23]
	v_add_f64_e32 v[155:156], v[50:51], v[80:81]
	v_add_f64_e32 v[94:95], v[50:51], v[52:53]
	;; [unrolled: 1-line block ×3, first 2 shown]
	v_add_f64_e64 v[78:79], v[44:45], -v[48:49]
	v_add_f64_e32 v[104:105], v[10:11], v[16:17]
	v_add_f64_e32 v[157:158], v[2:3], v[8:9]
	;; [unrolled: 1-line block ×4, first 2 shown]
	v_add_f64_e64 v[139:140], v[12:13], -v[26:27]
	v_add_f64_e32 v[143:144], v[4:5], v[26:27]
	v_add_f64_e64 v[147:148], v[26:27], -v[46:47]
	v_add_f64_e64 v[26:27], v[26:27], -v[12:13]
	;; [unrolled: 1-line block ×9, first 2 shown]
	v_add_f64_e32 v[117:118], v[6:7], v[28:29]
	v_add_f64_e64 v[28:29], v[28:29], -v[30:31]
	v_add_f64_e64 v[127:128], v[14:15], -v[24:25]
	;; [unrolled: 1-line block ×5, first 2 shown]
	v_add_f64_e32 v[145:146], v[40:41], v[82:83]
	v_fma_f64 v[76:77], v[76:77], -0.5, v[107:108]
	v_add_f64_e64 v[159:160], v[8:9], -v[18:19]
	v_add_f64_e64 v[135:136], v[40:41], -v[34:35]
	v_fma_f64 v[74:75], v[74:75], -0.5, v[107:108]
	v_add_f64_e64 v[137:138], v[20:21], -v[42:43]
	v_add_f64_e64 v[106:107], v[10:11], -v[16:17]
	;; [unrolled: 1-line block ×6, first 2 shown]
	v_fma_f64 v[90:91], v[90:91], -0.5, v[82:83]
	v_fma_f64 v[82:83], v[92:93], -0.5, v[82:83]
	;; [unrolled: 1-line block ×5, first 2 shown]
	v_add_f64_e64 v[94:95], v[50:51], -v[52:53]
	v_fma_f64 v[104:105], v[104:105], -0.5, v[2:3]
	v_add_f64_e64 v[96:97], v[38:39], -v[54:55]
	v_fma_f64 v[2:3], v[109:110], -0.5, v[2:3]
	v_fma_f64 v[102:103], v[102:103], -0.5, v[4:5]
	;; [unrolled: 1-line block ×4, first 2 shown]
	v_add_f64_e64 v[129:130], v[44:45], -v[36:37]
	v_add_f64_e64 v[161:162], v[10:11], -v[8:9]
	;; [unrolled: 1-line block ×3, first 2 shown]
	v_add_f64_e32 v[44:45], v[44:45], v[125:126]
	v_add_f64_e32 v[12:13], v[12:13], v[143:144]
	;; [unrolled: 1-line block ×5, first 2 shown]
	v_add_f64_e64 v[108:109], v[38:39], -v[50:51]
	v_add_f64_e64 v[50:51], v[50:51], -v[38:39]
	;; [unrolled: 1-line block ×3, first 2 shown]
	v_add_f64_e32 v[78:79], v[78:79], v[84:85]
	v_add_f64_e64 v[84:85], v[16:17], -v[18:19]
	v_add_f64_e32 v[86:87], v[86:87], v[88:89]
	v_add_f64_e64 v[88:89], v[18:19], -v[16:17]
	v_add_f64_e32 v[98:99], v[98:99], v[100:101]
	v_add_f64_e32 v[100:101], v[113:114], v[115:116]
	;; [unrolled: 1-line block ×5, first 2 shown]
	v_fma_f64 v[38:39], v[127:128], s[4:5], v[74:75]
	v_fma_f64 v[74:75], v[127:128], s[8:9], v[74:75]
	v_fma_f64 v[131:132], v[28:29], s[8:9], v[76:77]
	v_fma_f64 v[76:77], v[28:29], s[4:5], v[76:77]
	v_add_f64_e64 v[110:111], v[54:55], -v[52:53]
	v_add_f64_e32 v[114:115], v[135:136], v[137:138]
	v_add_f64_e32 v[34:35], v[34:35], v[145:146]
	v_fma_f64 v[133:134], v[149:150], s[4:5], v[90:91]
	v_fma_f64 v[90:91], v[149:150], s[8:9], v[90:91]
	;; [unrolled: 1-line block ×20, first 2 shown]
	v_add_f64_e32 v[12:13], v[12:13], v[22:23]
	v_add_f64_e32 v[22:23], v[54:55], v[26:27]
	;; [unrolled: 1-line block ×7, first 2 shown]
	v_add_co_u32 v64, vcc_lo, v163, v64
	v_add_f64_e32 v[14:15], v[14:15], v[24:25]
	s_wait_alu 0xfffd
	v_add_co_ci_u32_e32 v65, vcc_lo, v164, v65, vcc_lo
	s_wait_alu 0xfffe
	v_fma_f64 v[26:27], v[28:29], s[10:11], v[74:75]
	v_fma_f64 v[16:17], v[28:29], s[2:3], v[38:39]
	;; [unrolled: 1-line block ×3, first 2 shown]
	v_add_f64_e32 v[108:109], v[108:109], v[110:111]
	v_fma_f64 v[28:29], v[127:128], s[2:3], v[131:132]
	v_add_f64_e32 v[24:25], v[42:43], v[34:35]
	v_fma_f64 v[34:35], v[147:148], s[2:3], v[133:134]
	v_fma_f64 v[36:37], v[147:148], s[10:11], v[90:91]
	;; [unrolled: 1-line block ×20, first 2 shown]
	v_add_f64_e32 v[6:7], v[12:13], v[46:47]
	v_add_f64_e32 v[12:13], v[52:53], v[22:23]
	;; [unrolled: 1-line block ×3, first 2 shown]
	v_add_co_u32 v131, vcc_lo, v163, v56
	s_wait_alu 0xfffd
	v_add_co_ci_u32_e32 v132, vcc_lo, v164, v57, vcc_lo
	v_add_f64_e32 v[4:5], v[32:33], v[8:9]
	v_add_nc_u32_e32 v119, 0x150, v0
	v_add_f64_e32 v[2:3], v[14:15], v[30:31]
	v_lshlrev_b64_e32 v[68:69], 4, v[0:1]
	v_add_nc_u32_e32 v121, 0x2a0, v0
	v_add_nc_u32_e32 v123, 0x3f0, v0
	v_fma_f64 v[16:17], v[78:79], s[0:1], v[16:17]
	v_lshlrev_b64_e32 v[118:119], 4, v[119:120]
	v_add_nc_u32_e32 v0, 0x540, v0
	v_add_co_u32 v68, vcc_lo, v163, v68
	v_add_f64_e32 v[8:9], v[20:21], v[24:25]
	v_fma_f64 v[32:33], v[112:113], s[0:1], v[36:37]
	v_fma_f64 v[40:41], v[108:109], s[0:1], v[42:43]
	;; [unrolled: 1-line block ×23, first 2 shown]
	v_lshlrev_b64_e32 v[74:75], 4, v[121:122]
	s_wait_alu 0xfffd
	v_add_co_ci_u32_e32 v69, vcc_lo, v164, v69, vcc_lo
	v_lshlrev_b64_e32 v[76:77], 4, v[123:124]
	v_add_co_u32 v78, vcc_lo, v163, v118
	s_wait_alu 0xfffd
	v_add_co_ci_u32_e32 v79, vcc_lo, v164, v119, vcc_lo
	v_lshlrev_b64_e32 v[0:1], 4, v[0:1]
	v_add_co_u32 v74, vcc_lo, v163, v74
	s_wait_alu 0xfffd
	v_add_co_ci_u32_e32 v75, vcc_lo, v164, v75, vcc_lo
	v_add_co_u32 v76, vcc_lo, v163, v76
	s_wait_alu 0xfffd
	v_add_co_ci_u32_e32 v77, vcc_lo, v164, v77, vcc_lo
	;; [unrolled: 3-line block ×3, first 2 shown]
	s_clause 0xe
	global_store_b128 v[62:63], v[10:13], off
	global_store_b128 v[62:63], v[50:53], off offset:5376
	global_store_b128 v[62:63], v[42:45], off offset:10752
	;; [unrolled: 1-line block ×4, first 2 shown]
	global_store_b128 v[66:67], v[6:9], off
	global_store_b128 v[70:71], v[54:57], off
	;; [unrolled: 1-line block ×10, first 2 shown]
.LBB0_53:
	s_nop 0
	s_sendmsg sendmsg(MSG_DEALLOC_VGPRS)
	s_endpgm
	.section	.rodata,"a",@progbits
	.p2align	6, 0x0
	.amdhsa_kernel fft_rtc_fwd_len1680_factors_2_2_2_2_3_7_5_wgs_112_tpt_112_halfLds_dp_op_CI_CI_unitstride_sbrr_dirReg
		.amdhsa_group_segment_fixed_size 0
		.amdhsa_private_segment_fixed_size 0
		.amdhsa_kernarg_size 104
		.amdhsa_user_sgpr_count 2
		.amdhsa_user_sgpr_dispatch_ptr 0
		.amdhsa_user_sgpr_queue_ptr 0
		.amdhsa_user_sgpr_kernarg_segment_ptr 1
		.amdhsa_user_sgpr_dispatch_id 0
		.amdhsa_user_sgpr_private_segment_size 0
		.amdhsa_wavefront_size32 1
		.amdhsa_uses_dynamic_stack 0
		.amdhsa_enable_private_segment 0
		.amdhsa_system_sgpr_workgroup_id_x 1
		.amdhsa_system_sgpr_workgroup_id_y 0
		.amdhsa_system_sgpr_workgroup_id_z 0
		.amdhsa_system_sgpr_workgroup_info 0
		.amdhsa_system_vgpr_workitem_id 0
		.amdhsa_next_free_vgpr 165
		.amdhsa_next_free_sgpr 39
		.amdhsa_reserve_vcc 1
		.amdhsa_float_round_mode_32 0
		.amdhsa_float_round_mode_16_64 0
		.amdhsa_float_denorm_mode_32 3
		.amdhsa_float_denorm_mode_16_64 3
		.amdhsa_fp16_overflow 0
		.amdhsa_workgroup_processor_mode 1
		.amdhsa_memory_ordered 1
		.amdhsa_forward_progress 0
		.amdhsa_round_robin_scheduling 0
		.amdhsa_exception_fp_ieee_invalid_op 0
		.amdhsa_exception_fp_denorm_src 0
		.amdhsa_exception_fp_ieee_div_zero 0
		.amdhsa_exception_fp_ieee_overflow 0
		.amdhsa_exception_fp_ieee_underflow 0
		.amdhsa_exception_fp_ieee_inexact 0
		.amdhsa_exception_int_div_zero 0
	.end_amdhsa_kernel
	.text
.Lfunc_end0:
	.size	fft_rtc_fwd_len1680_factors_2_2_2_2_3_7_5_wgs_112_tpt_112_halfLds_dp_op_CI_CI_unitstride_sbrr_dirReg, .Lfunc_end0-fft_rtc_fwd_len1680_factors_2_2_2_2_3_7_5_wgs_112_tpt_112_halfLds_dp_op_CI_CI_unitstride_sbrr_dirReg
                                        ; -- End function
	.section	.AMDGPU.csdata,"",@progbits
; Kernel info:
; codeLenInByte = 13756
; NumSgprs: 41
; NumVgprs: 165
; ScratchSize: 0
; MemoryBound: 1
; FloatMode: 240
; IeeeMode: 1
; LDSByteSize: 0 bytes/workgroup (compile time only)
; SGPRBlocks: 5
; VGPRBlocks: 20
; NumSGPRsForWavesPerEU: 41
; NumVGPRsForWavesPerEU: 165
; Occupancy: 9
; WaveLimiterHint : 1
; COMPUTE_PGM_RSRC2:SCRATCH_EN: 0
; COMPUTE_PGM_RSRC2:USER_SGPR: 2
; COMPUTE_PGM_RSRC2:TRAP_HANDLER: 0
; COMPUTE_PGM_RSRC2:TGID_X_EN: 1
; COMPUTE_PGM_RSRC2:TGID_Y_EN: 0
; COMPUTE_PGM_RSRC2:TGID_Z_EN: 0
; COMPUTE_PGM_RSRC2:TIDIG_COMP_CNT: 0
	.text
	.p2alignl 7, 3214868480
	.fill 96, 4, 3214868480
	.type	__hip_cuid_968e9d5bbdbffe89,@object ; @__hip_cuid_968e9d5bbdbffe89
	.section	.bss,"aw",@nobits
	.globl	__hip_cuid_968e9d5bbdbffe89
__hip_cuid_968e9d5bbdbffe89:
	.byte	0                               ; 0x0
	.size	__hip_cuid_968e9d5bbdbffe89, 1

	.ident	"AMD clang version 19.0.0git (https://github.com/RadeonOpenCompute/llvm-project roc-6.4.0 25133 c7fe45cf4b819c5991fe208aaa96edf142730f1d)"
	.section	".note.GNU-stack","",@progbits
	.addrsig
	.addrsig_sym __hip_cuid_968e9d5bbdbffe89
	.amdgpu_metadata
---
amdhsa.kernels:
  - .args:
      - .actual_access:  read_only
        .address_space:  global
        .offset:         0
        .size:           8
        .value_kind:     global_buffer
      - .offset:         8
        .size:           8
        .value_kind:     by_value
      - .actual_access:  read_only
        .address_space:  global
        .offset:         16
        .size:           8
        .value_kind:     global_buffer
      - .actual_access:  read_only
        .address_space:  global
        .offset:         24
        .size:           8
        .value_kind:     global_buffer
      - .actual_access:  read_only
        .address_space:  global
        .offset:         32
        .size:           8
        .value_kind:     global_buffer
      - .offset:         40
        .size:           8
        .value_kind:     by_value
      - .actual_access:  read_only
        .address_space:  global
        .offset:         48
        .size:           8
        .value_kind:     global_buffer
      - .actual_access:  read_only
        .address_space:  global
        .offset:         56
        .size:           8
        .value_kind:     global_buffer
      - .offset:         64
        .size:           4
        .value_kind:     by_value
      - .actual_access:  read_only
        .address_space:  global
        .offset:         72
        .size:           8
        .value_kind:     global_buffer
      - .actual_access:  read_only
        .address_space:  global
        .offset:         80
        .size:           8
        .value_kind:     global_buffer
      - .actual_access:  read_only
        .address_space:  global
        .offset:         88
        .size:           8
        .value_kind:     global_buffer
      - .actual_access:  write_only
        .address_space:  global
        .offset:         96
        .size:           8
        .value_kind:     global_buffer
    .group_segment_fixed_size: 0
    .kernarg_segment_align: 8
    .kernarg_segment_size: 104
    .language:       OpenCL C
    .language_version:
      - 2
      - 0
    .max_flat_workgroup_size: 112
    .name:           fft_rtc_fwd_len1680_factors_2_2_2_2_3_7_5_wgs_112_tpt_112_halfLds_dp_op_CI_CI_unitstride_sbrr_dirReg
    .private_segment_fixed_size: 0
    .sgpr_count:     41
    .sgpr_spill_count: 0
    .symbol:         fft_rtc_fwd_len1680_factors_2_2_2_2_3_7_5_wgs_112_tpt_112_halfLds_dp_op_CI_CI_unitstride_sbrr_dirReg.kd
    .uniform_work_group_size: 1
    .uses_dynamic_stack: false
    .vgpr_count:     165
    .vgpr_spill_count: 0
    .wavefront_size: 32
    .workgroup_processor_mode: 1
amdhsa.target:   amdgcn-amd-amdhsa--gfx1201
amdhsa.version:
  - 1
  - 2
...

	.end_amdgpu_metadata
